;; amdgpu-corpus repo=ROCm/rocFFT kind=compiled arch=gfx906 opt=O3
	.text
	.amdgcn_target "amdgcn-amd-amdhsa--gfx906"
	.amdhsa_code_object_version 6
	.protected	bluestein_single_back_len2000_dim1_sp_op_CI_CI ; -- Begin function bluestein_single_back_len2000_dim1_sp_op_CI_CI
	.globl	bluestein_single_back_len2000_dim1_sp_op_CI_CI
	.p2align	8
	.type	bluestein_single_back_len2000_dim1_sp_op_CI_CI,@function
bluestein_single_back_len2000_dim1_sp_op_CI_CI: ; @bluestein_single_back_len2000_dim1_sp_op_CI_CI
; %bb.0:
	s_load_dwordx4 s[8:11], s[4:5], 0x28
	v_mul_u32_u24_e32 v1, 0x20d, v0
	v_add_u32_sdwa v140, s6, v1 dst_sel:DWORD dst_unused:UNUSED_PAD src0_sel:DWORD src1_sel:WORD_1
	v_mov_b32_e32 v141, 0
	s_waitcnt lgkmcnt(0)
	v_cmp_gt_u64_e32 vcc, s[8:9], v[140:141]
	s_and_saveexec_b64 s[0:1], vcc
	s_cbranch_execz .LBB0_31
; %bb.1:
	s_load_dwordx4 s[12:15], s[4:5], 0x18
	s_movk_i32 s6, 0x7d
	v_mul_lo_u16_sdwa v1, v1, s6 dst_sel:DWORD dst_unused:UNUSED_PAD src0_sel:WORD_1 src1_sel:DWORD
	v_sub_u16_e32 v174, v0, v1
	v_lshlrev_b32_e32 v173, 3, v174
	s_waitcnt lgkmcnt(0)
	s_load_dwordx4 s[0:3], s[12:13], 0x0
	s_waitcnt lgkmcnt(0)
	v_mad_u64_u32 v[0:1], s[6:7], s2, v140, 0
	v_mad_u64_u32 v[2:3], s[6:7], s0, v174, 0
	s_load_dwordx2 s[12:13], s[4:5], 0x0
	s_mul_i32 s6, s1, 0x190
	v_mad_u64_u32 v[4:5], s[2:3], s3, v140, v[1:2]
	s_mul_hi_u32 s7, s0, 0x190
	s_add_i32 s7, s7, s6
	v_mad_u64_u32 v[5:6], s[2:3], s1, v174, v[3:4]
	v_mov_b32_e32 v1, v4
	v_lshlrev_b64 v[0:1], 3, v[0:1]
	v_mov_b32_e32 v6, s11
	v_mov_b32_e32 v3, v5
	v_add_co_u32_e32 v4, vcc, s10, v0
	v_addc_co_u32_e32 v5, vcc, v6, v1, vcc
	v_lshlrev_b64 v[0:1], 3, v[2:3]
	s_waitcnt lgkmcnt(0)
	v_mov_b32_e32 v2, s13
	v_add_co_u32_e32 v0, vcc, v4, v0
	v_add_co_u32_e64 v120, s[2:3], s12, v173
	s_mul_i32 s6, s0, 0x190
	v_addc_co_u32_e32 v1, vcc, v5, v1, vcc
	v_addc_co_u32_e64 v121, vcc, 0, v2, s[2:3]
	s_lshl_b64 s[16:17], s[6:7], 3
	v_mov_b32_e32 v36, s17
	v_add_co_u32_e32 v2, vcc, s16, v0
	v_addc_co_u32_e32 v3, vcc, v1, v36, vcc
	v_add_co_u32_e32 v4, vcc, s16, v2
	v_addc_co_u32_e32 v5, vcc, v3, v36, vcc
	s_movk_i32 s6, 0x1000
	global_load_dwordx2 v[151:152], v173, s[12:13]
	global_load_dwordx2 v[149:150], v173, s[12:13] offset:3200
	global_load_dwordx2 v[8:9], v[0:1], off
	global_load_dwordx2 v[10:11], v[2:3], off
	;; [unrolled: 1-line block ×3, first 2 shown]
	v_add_co_u32_e32 v2, vcc, s6, v120
	v_addc_co_u32_e32 v3, vcc, 0, v121, vcc
	v_add_co_u32_e32 v0, vcc, s16, v4
	v_addc_co_u32_e32 v1, vcc, v5, v36, vcc
	s_movk_i32 s6, 0x2000
	v_add_co_u32_e32 v4, vcc, s6, v120
	v_addc_co_u32_e32 v5, vcc, 0, v121, vcc
	v_add_co_u32_e32 v6, vcc, s16, v0
	v_addc_co_u32_e32 v7, vcc, v1, v36, vcc
	s_movk_i32 s6, 0x3000
	global_load_dwordx2 v[14:15], v[0:1], off
	v_add_co_u32_e32 v0, vcc, s6, v120
	s_mul_hi_u32 s6, s0, 0xfffffa3d
	s_mulk_i32 s1, 0xfa3d
	s_sub_i32 s6, s6, s0
	s_add_i32 s1, s6, s1
	s_mulk_i32 s0, 0xfa3d
	v_addc_co_u32_e32 v1, vcc, 0, v121, vcc
	s_lshl_b64 s[18:19], s[0:1], 3
	global_load_dwordx2 v[16:17], v[6:7], off
	v_mov_b32_e32 v28, s19
	v_add_co_u32_e32 v6, vcc, s18, v6
	v_addc_co_u32_e32 v7, vcc, v7, v28, vcc
	global_load_dwordx2 v[147:148], v[2:3], off offset:2304
	global_load_dwordx2 v[145:146], v[4:5], off offset:1408
	;; [unrolled: 1-line block ×3, first 2 shown]
	global_load_dwordx2 v[18:19], v[6:7], off
	global_load_dwordx2 v[143:144], v173, s[12:13] offset:1000
	v_add_co_u32_e32 v6, vcc, s16, v6
	v_addc_co_u32_e32 v7, vcc, v7, v36, vcc
	global_load_dwordx2 v[20:21], v[6:7], off
	global_load_dwordx2 v[138:139], v[2:3], off offset:104
	v_add_co_u32_e32 v6, vcc, s16, v6
	v_addc_co_u32_e32 v7, vcc, v7, v36, vcc
	global_load_dwordx2 v[22:23], v[6:7], off
	global_load_dwordx2 v[136:137], v[2:3], off offset:3304
	;; [unrolled: 4-line block ×4, first 2 shown]
	v_add_co_u32_e32 v6, vcc, s18, v6
	v_addc_co_u32_e32 v7, vcc, v7, v28, vcc
	global_load_dwordx2 v[28:29], v[6:7], off
	global_load_dwordx2 v[130:131], v173, s[12:13] offset:2000
	v_add_co_u32_e32 v6, vcc, s16, v6
	v_addc_co_u32_e32 v7, vcc, v7, v36, vcc
	global_load_dwordx2 v[30:31], v[6:7], off
	global_load_dwordx2 v[126:127], v[2:3], off offset:1104
	v_add_co_u32_e32 v6, vcc, s16, v6
	v_addc_co_u32_e32 v7, vcc, v7, v36, vcc
	global_load_dwordx2 v[32:33], v[6:7], off
	global_load_dwordx2 v[124:125], v[4:5], off offset:3408
	global_load_dwordx2 v[128:129], v[4:5], off offset:208
	v_add_co_u32_e32 v6, vcc, s16, v6
	v_addc_co_u32_e32 v7, vcc, v7, v36, vcc
	global_load_dwordx2 v[34:35], v[6:7], off
	v_add_co_u32_e32 v6, vcc, s16, v6
	v_addc_co_u32_e32 v7, vcc, v7, v36, vcc
	global_load_dwordx2 v[36:37], v[6:7], off
	global_load_dwordx2 v[122:123], v[0:1], off offset:2512
	s_waitcnt vmcnt(27)
	v_mul_f32_e32 v38, v9, v152
	v_fmac_f32_e32 v38, v8, v151
	v_mul_f32_e32 v8, v8, v152
	v_fma_f32 v39, v9, v151, -v8
	s_waitcnt vmcnt(26)
	v_mul_f32_e32 v8, v11, v150
	v_mul_f32_e32 v9, v10, v150
	v_fmac_f32_e32 v8, v10, v149
	v_fma_f32 v9, v11, v149, -v9
	s_load_dwordx2 s[6:7], s[4:5], 0x38
	s_load_dwordx4 s[8:11], s[14:15], 0x0
	ds_write_b64 v173, v[8:9] offset:3200
	v_cmp_gt_u16_e64 s[0:1], 25, v174
	s_waitcnt vmcnt(22)
	v_mul_f32_e32 v8, v13, v148
	v_mul_f32_e32 v9, v12, v148
	v_fmac_f32_e32 v8, v12, v147
	v_fma_f32 v9, v13, v147, -v9
	ds_write_b64 v173, v[8:9] offset:6400
	s_waitcnt vmcnt(21)
	v_mul_f32_e32 v8, v15, v146
	v_mul_f32_e32 v9, v14, v146
	v_fmac_f32_e32 v8, v14, v145
	v_fma_f32 v9, v15, v145, -v9
	ds_write_b64 v173, v[8:9] offset:9600
	;; [unrolled: 6-line block ×3, first 2 shown]
	s_waitcnt vmcnt(18)
	v_mul_f32_e32 v8, v19, v144
	v_fmac_f32_e32 v8, v18, v143
	v_mul_f32_e32 v9, v18, v144
	s_waitcnt vmcnt(12)
	v_mul_f32_e32 v12, v24, v135
	v_fma_f32 v14, v25, v134, -v12
	v_fma_f32 v9, v19, v143, -v9
	ds_write2_b64 v173, v[38:39], v[8:9] offset1:125
	v_mul_f32_e32 v8, v21, v139
	s_waitcnt vmcnt(10)
	v_mul_f32_e32 v12, v26, v133
	v_fma_f32 v18, v27, v132, -v12
	v_mul_f32_e32 v9, v20, v139
	v_fmac_f32_e32 v8, v20, v138
	v_fma_f32 v9, v21, v138, -v9
	s_waitcnt vmcnt(8)
	v_mul_f32_e32 v15, v29, v131
	v_mul_f32_e32 v12, v28, v131
	v_fmac_f32_e32 v15, v28, v130
	v_fma_f32 v16, v29, v130, -v12
	ds_write_b64 v173, v[15:16] offset:2000
	s_waitcnt vmcnt(6)
	v_mul_f32_e32 v15, v31, v127
	v_mul_f32_e32 v12, v30, v127
	v_fmac_f32_e32 v15, v30, v126
	v_fma_f32 v16, v31, v126, -v12
	v_add_u32_e32 v12, 0x1000, v173
	v_mul_f32_e32 v10, v23, v137
	v_mul_f32_e32 v11, v22, v137
	ds_write2_b64 v12, v[8:9], v[15:16] offset0:13 offset1:138
	s_waitcnt vmcnt(3)
	v_mul_f32_e32 v8, v33, v129
	v_mul_f32_e32 v9, v32, v129
	v_fmac_f32_e32 v10, v22, v136
	v_fma_f32 v11, v23, v136, -v11
	v_fmac_f32_e32 v8, v32, v128
	v_fma_f32 v9, v33, v128, -v9
	v_add_u32_e32 v15, 0x1c00, v173
	v_mul_f32_e32 v13, v25, v135
	ds_write2_b64 v15, v[10:11], v[8:9] offset0:29 offset1:154
	s_waitcnt vmcnt(2)
	v_mul_f32_e32 v8, v35, v125
	v_mul_f32_e32 v9, v34, v125
	v_fmac_f32_e32 v13, v24, v134
	v_fmac_f32_e32 v8, v34, v124
	v_fma_f32 v9, v35, v124, -v9
	v_add_u32_e32 v16, 0x2800, v173
	v_mul_f32_e32 v17, v27, v133
	ds_write2_b64 v16, v[13:14], v[8:9] offset0:45 offset1:170
	s_waitcnt vmcnt(0)
	v_mul_f32_e32 v8, v37, v123
	v_mul_f32_e32 v9, v36, v123
	v_fmac_f32_e32 v17, v26, v132
	v_fmac_f32_e32 v8, v36, v122
	v_fma_f32 v9, v37, v122, -v9
	v_add_u32_e32 v10, 0x3400, v173
	ds_write2_b64 v10, v[17:18], v[8:9] offset0:61 offset1:186
	s_and_saveexec_b64 s[14:15], s[0:1]
	s_cbranch_execz .LBB0_3
; %bb.2:
	v_mov_b32_e32 v8, s19
	v_add_co_u32_e32 v6, vcc, s18, v6
	v_addc_co_u32_e32 v7, vcc, v7, v8, vcc
	global_load_dwordx2 v[8:9], v[6:7], off
	v_mov_b32_e32 v15, s17
	v_add_co_u32_e32 v6, vcc, s16, v6
	v_addc_co_u32_e32 v7, vcc, v7, v15, vcc
	global_load_dwordx2 v[10:11], v[6:7], off
	global_load_dwordx2 v[13:14], v[120:121], off offset:3000
	global_load_dwordx2 v[17:18], v[2:3], off offset:2104
	v_add_co_u32_e32 v2, vcc, s16, v6
	v_addc_co_u32_e32 v3, vcc, v7, v15, vcc
	global_load_dwordx2 v[6:7], v[2:3], off
	global_load_dwordx2 v[19:20], v[4:5], off offset:1208
	v_add_co_u32_e32 v2, vcc, s16, v2
	v_addc_co_u32_e32 v3, vcc, v3, v15, vcc
	global_load_dwordx2 v[4:5], v[2:3], off
	global_load_dwordx2 v[21:22], v[0:1], off offset:312
	v_add_co_u32_e32 v2, vcc, s16, v2
	v_addc_co_u32_e32 v3, vcc, v3, v15, vcc
	global_load_dwordx2 v[23:24], v[0:1], off offset:3512
	global_load_dwordx2 v[25:26], v[2:3], off
	s_waitcnt vmcnt(7)
	v_mul_f32_e32 v0, v9, v14
	v_mul_f32_e32 v1, v8, v14
	v_fmac_f32_e32 v0, v8, v13
	v_fma_f32 v1, v9, v13, -v1
	s_waitcnt vmcnt(6)
	v_mul_f32_e32 v2, v11, v18
	v_mul_f32_e32 v3, v10, v18
	ds_write_b64 v173, v[0:1] offset:3000
	s_waitcnt vmcnt(4)
	v_mul_f32_e32 v0, v7, v20
	v_mul_f32_e32 v1, v6, v20
	v_fmac_f32_e32 v2, v10, v17
	v_fma_f32 v3, v11, v17, -v3
	v_fmac_f32_e32 v0, v6, v19
	v_fma_f32 v1, v7, v19, -v1
	ds_write_b64 v173, v[2:3] offset:6200
	s_waitcnt vmcnt(2)
	v_mul_f32_e32 v2, v5, v22
	v_mul_f32_e32 v3, v4, v22
	ds_write_b64 v173, v[0:1] offset:9400
	s_waitcnt vmcnt(0)
	v_mul_f32_e32 v0, v26, v24
	v_mul_f32_e32 v1, v25, v24
	v_fmac_f32_e32 v2, v4, v21
	v_fma_f32 v3, v5, v21, -v3
	v_fmac_f32_e32 v0, v25, v23
	v_fma_f32 v1, v26, v23, -v1
	ds_write_b64 v173, v[2:3] offset:12600
	ds_write_b64 v173, v[0:1] offset:15800
.LBB0_3:
	s_or_b64 exec, exec, s[14:15]
	v_add_u32_e32 v8, 0x1800, v173
	s_waitcnt lgkmcnt(0)
	s_barrier
	v_add_u32_e32 v0, 0x600, v173
	ds_read2_b64 v[20:23], v8 offset0:32 offset1:157
	v_add_u32_e32 v8, 0x2000, v173
	v_add_u32_e32 v13, 0x3000, v173
	ds_read2_b64 v[4:7], v173 offset1:125
	ds_read2_b64 v[0:3], v0 offset0:58 offset1:208
	ds_read2_b64 v[8:11], v8 offset0:26 offset1:176
	;; [unrolled: 1-line block ×5, first 2 shown]
	ds_read_b64 v[36:37], v173 offset:14800
                                        ; implicit-def: $vgpr60
                                        ; implicit-def: $vgpr28
                                        ; implicit-def: $vgpr30
                                        ; implicit-def: $vgpr32
                                        ; implicit-def: $vgpr34
	s_and_saveexec_b64 s[14:15], s[0:1]
	s_cbranch_execz .LBB0_5
; %bb.4:
	ds_read_b64 v[60:61], v173 offset:3000
	ds_read_b64 v[28:29], v173 offset:6200
	;; [unrolled: 1-line block ×5, first 2 shown]
.LBB0_5:
	s_or_b64 exec, exec, s[14:15]
	s_waitcnt lgkmcnt(4)
	v_add_f32_e32 v39, v20, v10
	v_fma_f32 v40, -0.5, v39, v4
	s_waitcnt lgkmcnt(3)
	v_sub_f32_e32 v39, v3, v25
	v_mov_b32_e32 v42, v40
	v_fmac_f32_e32 v42, 0x3f737871, v39
	v_sub_f32_e32 v41, v21, v11
	v_sub_f32_e32 v43, v2, v20
	;; [unrolled: 1-line block ×3, first 2 shown]
	v_fmac_f32_e32 v40, 0xbf737871, v39
	v_fmac_f32_e32 v42, 0x3f167918, v41
	v_add_f32_e32 v43, v43, v44
	v_fmac_f32_e32 v40, 0xbf167918, v41
	v_fmac_f32_e32 v42, 0x3e9e377a, v43
	;; [unrolled: 1-line block ×3, first 2 shown]
	v_add_f32_e32 v43, v2, v24
	v_add_f32_e32 v38, v4, v2
	v_fma_f32 v4, -0.5, v43, v4
	v_mov_b32_e32 v44, v4
	v_fmac_f32_e32 v44, 0xbf737871, v41
	v_sub_f32_e32 v43, v20, v2
	v_sub_f32_e32 v45, v10, v24
	v_fmac_f32_e32 v4, 0x3f737871, v41
	v_add_f32_e32 v41, v21, v11
	v_add_f32_e32 v38, v38, v20
	v_fmac_f32_e32 v44, 0x3f167918, v39
	v_add_f32_e32 v43, v43, v45
	v_fmac_f32_e32 v4, 0xbf167918, v39
	v_fma_f32 v41, -0.5, v41, v5
	v_add_f32_e32 v38, v38, v10
	v_fmac_f32_e32 v44, 0x3e9e377a, v43
	v_fmac_f32_e32 v4, 0x3e9e377a, v43
	v_sub_f32_e32 v2, v2, v24
	v_mov_b32_e32 v43, v41
	v_add_f32_e32 v38, v38, v24
	v_fmac_f32_e32 v43, 0xbf737871, v2
	v_sub_f32_e32 v10, v20, v10
	v_sub_f32_e32 v20, v3, v21
	;; [unrolled: 1-line block ×3, first 2 shown]
	v_fmac_f32_e32 v41, 0x3f737871, v2
	v_fmac_f32_e32 v43, 0xbf167918, v10
	v_add_f32_e32 v20, v20, v24
	v_fmac_f32_e32 v41, 0x3f167918, v10
	v_fmac_f32_e32 v43, 0x3e9e377a, v20
	;; [unrolled: 1-line block ×3, first 2 shown]
	v_add_f32_e32 v20, v3, v25
	v_add_f32_e32 v39, v5, v3
	v_fma_f32 v5, -0.5, v20, v5
	v_add_f32_e32 v39, v39, v21
	v_mov_b32_e32 v45, v5
	v_add_f32_e32 v39, v39, v11
	v_fmac_f32_e32 v45, 0x3f737871, v10
	v_sub_f32_e32 v3, v21, v3
	v_sub_f32_e32 v11, v11, v25
	v_fmac_f32_e32 v5, 0xbf737871, v10
	v_fmac_f32_e32 v45, 0xbf167918, v2
	v_add_f32_e32 v3, v3, v11
	v_fmac_f32_e32 v5, 0x3f167918, v2
	v_fmac_f32_e32 v45, 0x3e9e377a, v3
	;; [unrolled: 1-line block ×3, first 2 shown]
	s_waitcnt lgkmcnt(1)
	v_add_f32_e32 v3, v22, v16
	v_fma_f32 v10, -0.5, v3, v6
	v_sub_f32_e32 v3, v13, v27
	v_mov_b32_e32 v20, v10
	v_fmac_f32_e32 v20, 0x3f737871, v3
	v_sub_f32_e32 v11, v23, v17
	v_sub_f32_e32 v21, v12, v22
	;; [unrolled: 1-line block ×3, first 2 shown]
	v_fmac_f32_e32 v10, 0xbf737871, v3
	v_fmac_f32_e32 v20, 0x3f167918, v11
	v_add_f32_e32 v21, v21, v24
	v_fmac_f32_e32 v10, 0xbf167918, v11
	v_fmac_f32_e32 v20, 0x3e9e377a, v21
	;; [unrolled: 1-line block ×3, first 2 shown]
	v_add_f32_e32 v21, v12, v26
	v_add_f32_e32 v2, v6, v12
	v_fma_f32 v6, -0.5, v21, v6
	v_mov_b32_e32 v24, v6
	v_add_f32_e32 v39, v39, v25
	v_fmac_f32_e32 v24, 0xbf737871, v11
	v_sub_f32_e32 v21, v22, v12
	v_sub_f32_e32 v25, v16, v26
	v_fmac_f32_e32 v6, 0x3f737871, v11
	v_add_f32_e32 v11, v23, v17
	v_fmac_f32_e32 v24, 0x3f167918, v3
	v_add_f32_e32 v21, v21, v25
	v_fmac_f32_e32 v6, 0xbf167918, v3
	v_fma_f32 v11, -0.5, v11, v7
	v_add_f32_e32 v2, v2, v22
	v_fmac_f32_e32 v24, 0x3e9e377a, v21
	v_fmac_f32_e32 v6, 0x3e9e377a, v21
	v_sub_f32_e32 v12, v12, v26
	v_mov_b32_e32 v21, v11
	v_add_f32_e32 v2, v2, v16
	v_fmac_f32_e32 v21, 0xbf737871, v12
	v_sub_f32_e32 v16, v22, v16
	v_sub_f32_e32 v22, v13, v23
	v_sub_f32_e32 v25, v27, v17
	v_fmac_f32_e32 v11, 0x3f737871, v12
	v_fmac_f32_e32 v21, 0xbf167918, v16
	v_add_f32_e32 v22, v22, v25
	v_fmac_f32_e32 v11, 0x3f167918, v16
	v_fmac_f32_e32 v21, 0x3e9e377a, v22
	;; [unrolled: 1-line block ×3, first 2 shown]
	v_add_f32_e32 v22, v13, v27
	v_add_f32_e32 v3, v7, v13
	v_fmac_f32_e32 v7, -0.5, v22
	v_add_f32_e32 v3, v3, v23
	v_mov_b32_e32 v25, v7
	v_add_f32_e32 v3, v3, v17
	v_fmac_f32_e32 v25, 0x3f737871, v16
	v_sub_f32_e32 v13, v23, v13
	v_sub_f32_e32 v17, v17, v27
	v_fmac_f32_e32 v7, 0xbf737871, v16
	v_fmac_f32_e32 v25, 0xbf167918, v12
	v_add_f32_e32 v13, v13, v17
	v_fmac_f32_e32 v7, 0x3f167918, v12
	v_fmac_f32_e32 v25, 0x3e9e377a, v13
	;; [unrolled: 1-line block ×3, first 2 shown]
	v_add_f32_e32 v13, v8, v18
	v_fma_f32 v16, -0.5, v13, v0
	s_waitcnt lgkmcnt(0)
	v_sub_f32_e32 v13, v15, v37
	v_mov_b32_e32 v22, v16
	v_add_f32_e32 v2, v2, v26
	v_fmac_f32_e32 v22, 0x3f737871, v13
	v_sub_f32_e32 v17, v9, v19
	v_sub_f32_e32 v23, v14, v8
	;; [unrolled: 1-line block ×3, first 2 shown]
	v_fmac_f32_e32 v16, 0xbf737871, v13
	v_fmac_f32_e32 v22, 0x3f167918, v17
	v_add_f32_e32 v23, v23, v26
	v_fmac_f32_e32 v16, 0xbf167918, v17
	v_fmac_f32_e32 v22, 0x3e9e377a, v23
	v_fmac_f32_e32 v16, 0x3e9e377a, v23
	v_add_f32_e32 v23, v14, v36
	v_add_f32_e32 v12, v0, v14
	v_fma_f32 v0, -0.5, v23, v0
	v_mov_b32_e32 v26, v0
	v_add_f32_e32 v3, v3, v27
	v_fmac_f32_e32 v26, 0xbf737871, v17
	v_sub_f32_e32 v23, v8, v14
	v_sub_f32_e32 v27, v18, v36
	v_fmac_f32_e32 v0, 0x3f737871, v17
	v_add_f32_e32 v17, v9, v19
	v_fmac_f32_e32 v26, 0x3f167918, v13
	v_add_f32_e32 v23, v23, v27
	v_fmac_f32_e32 v0, 0xbf167918, v13
	v_fma_f32 v17, -0.5, v17, v1
	v_add_f32_e32 v12, v12, v8
	v_fmac_f32_e32 v26, 0x3e9e377a, v23
	v_fmac_f32_e32 v0, 0x3e9e377a, v23
	v_sub_f32_e32 v14, v14, v36
	v_mov_b32_e32 v23, v17
	v_add_f32_e32 v12, v12, v18
	v_fmac_f32_e32 v23, 0xbf737871, v14
	v_sub_f32_e32 v8, v8, v18
	v_sub_f32_e32 v18, v15, v9
	;; [unrolled: 1-line block ×3, first 2 shown]
	v_fmac_f32_e32 v17, 0x3f737871, v14
	v_fmac_f32_e32 v23, 0xbf167918, v8
	v_add_f32_e32 v18, v18, v27
	v_fmac_f32_e32 v17, 0x3f167918, v8
	v_fmac_f32_e32 v23, 0x3e9e377a, v18
	;; [unrolled: 1-line block ×3, first 2 shown]
	v_add_f32_e32 v18, v15, v37
	v_add_f32_e32 v13, v1, v15
	v_fmac_f32_e32 v1, -0.5, v18
	v_mov_b32_e32 v27, v1
	v_fmac_f32_e32 v27, 0x3f737871, v8
	v_fmac_f32_e32 v1, 0xbf737871, v8
	v_add_f32_e32 v8, v60, v28
	v_add_f32_e32 v8, v8, v30
	;; [unrolled: 1-line block ×6, first 2 shown]
	v_sub_f32_e32 v9, v9, v15
	v_sub_f32_e32 v15, v19, v37
	v_fma_f32 v62, -0.5, v8, v60
	v_fmac_f32_e32 v27, 0xbf167918, v14
	v_add_f32_e32 v9, v9, v15
	v_fmac_f32_e32 v1, 0x3f167918, v14
	v_sub_f32_e32 v8, v29, v35
	v_mov_b32_e32 v64, v62
	v_fmac_f32_e32 v27, 0x3e9e377a, v9
	v_fmac_f32_e32 v1, 0x3e9e377a, v9
	;; [unrolled: 1-line block ×3, first 2 shown]
	v_sub_f32_e32 v9, v31, v33
	v_sub_f32_e32 v14, v28, v30
	;; [unrolled: 1-line block ×3, first 2 shown]
	v_fmac_f32_e32 v62, 0xbf737871, v8
	v_fmac_f32_e32 v64, 0x3f167918, v9
	v_add_f32_e32 v14, v14, v15
	v_fmac_f32_e32 v62, 0xbf167918, v9
	v_fmac_f32_e32 v64, 0x3e9e377a, v14
	;; [unrolled: 1-line block ×3, first 2 shown]
	v_add_f32_e32 v14, v28, v34
	v_fmac_f32_e32 v60, -0.5, v14
	v_mov_b32_e32 v66, v60
	v_fmac_f32_e32 v66, 0xbf737871, v9
	v_fmac_f32_e32 v60, 0x3f737871, v9
	;; [unrolled: 1-line block ×4, first 2 shown]
	v_add_f32_e32 v8, v61, v29
	v_add_f32_e32 v8, v8, v31
	;; [unrolled: 1-line block ×5, first 2 shown]
	v_sub_f32_e32 v14, v30, v28
	v_sub_f32_e32 v15, v32, v34
	v_fma_f32 v63, -0.5, v8, v61
	v_add_f32_e32 v14, v14, v15
	v_sub_f32_e32 v8, v28, v34
	v_mov_b32_e32 v65, v63
	v_fmac_f32_e32 v66, 0x3e9e377a, v14
	v_fmac_f32_e32 v60, 0x3e9e377a, v14
	;; [unrolled: 1-line block ×3, first 2 shown]
	v_sub_f32_e32 v9, v30, v32
	v_sub_f32_e32 v14, v29, v31
	;; [unrolled: 1-line block ×3, first 2 shown]
	v_fmac_f32_e32 v63, 0x3f737871, v8
	v_fmac_f32_e32 v65, 0xbf167918, v9
	v_add_f32_e32 v14, v14, v15
	v_fmac_f32_e32 v63, 0x3f167918, v9
	v_fmac_f32_e32 v65, 0x3e9e377a, v14
	;; [unrolled: 1-line block ×3, first 2 shown]
	v_add_f32_e32 v14, v29, v35
	v_fmac_f32_e32 v61, -0.5, v14
	v_mov_b32_e32 v67, v61
	v_fmac_f32_e32 v67, 0x3f737871, v9
	v_fmac_f32_e32 v61, 0xbf737871, v9
	v_fmac_f32_e32 v67, 0xbf167918, v8
	v_fmac_f32_e32 v61, 0x3f167918, v8
	v_mul_lo_u16_e32 v8, 5, v174
	s_load_dwordx2 s[4:5], s[4:5], 0x8
	v_add_co_u32_e32 v106, vcc, 0x7d, v174
	v_lshlrev_b32_e32 v175, 3, v8
	s_waitcnt lgkmcnt(0)
	s_barrier
	ds_write2_b64 v175, v[38:39], v[42:43] offset1:1
	ds_write2_b64 v175, v[44:45], v[4:5] offset0:2 offset1:3
	ds_write_b64 v175, v[40:41] offset:32
	v_mul_u32_u24_e32 v4, 5, v106
	v_add_co_u32_e32 v105, vcc, 0xfa, v174
	v_sub_f32_e32 v14, v31, v29
	v_sub_f32_e32 v15, v33, v35
	v_lshlrev_b32_e32 v176, 3, v4
	v_add_co_u32_e32 v104, vcc, 0x177, v174
	v_add_f32_e32 v13, v13, v19
	v_add_f32_e32 v14, v14, v15
	ds_write2_b64 v176, v[2:3], v[20:21] offset1:1
	ds_write2_b64 v176, v[24:25], v[6:7] offset0:2 offset1:3
	ds_write_b64 v176, v[10:11] offset:32
	v_mul_u32_u24_e32 v2, 5, v105
	v_add_f32_e32 v12, v12, v36
	v_add_f32_e32 v13, v13, v37
	v_fmac_f32_e32 v67, 0x3e9e377a, v14
	v_fmac_f32_e32 v61, 0x3e9e377a, v14
	v_lshlrev_b32_e32 v177, 3, v2
	v_mul_u32_u24_e32 v178, 5, v104
	ds_write2_b64 v177, v[12:13], v[22:23] offset1:1
	ds_write2_b64 v177, v[26:27], v[0:1] offset0:2 offset1:3
	ds_write_b64 v177, v[16:17] offset:32
	s_and_saveexec_b64 s[14:15], s[0:1]
	s_cbranch_execz .LBB0_7
; %bb.6:
	v_lshlrev_b32_e32 v0, 3, v178
	ds_write2_b64 v0, v[92:93], v[64:65] offset1:1
	ds_write2_b64 v0, v[66:67], v[60:61] offset0:2 offset1:3
	ds_write_b64 v0, v[62:63] offset:32
.LBB0_7:
	s_or_b64 exec, exec, s[14:15]
	v_add_u32_e32 v8, 0x1800, v173
	s_waitcnt lgkmcnt(0)
	s_barrier
	ds_read2_b64 v[44:47], v8 offset0:32 offset1:157
	v_add_u32_e32 v8, 0x2000, v173
	ds_read2_b64 v[40:43], v8 offset0:26 offset1:176
	v_add_u32_e32 v8, 0x3000, v173
	;; [unrolled: 2-line block ×3, first 2 shown]
	v_add_u32_e32 v0, 0x600, v173
	ds_read2_b64 v[52:55], v8 offset0:13 offset1:138
	v_add_u32_e32 v8, 0x2800, v173
	ds_read2_b64 v[4:7], v173 offset1:125
	ds_read2_b64 v[0:3], v0 offset0:58 offset1:208
	ds_read2_b64 v[56:59], v8 offset0:45 offset1:170
	ds_read_b64 v[68:69], v173 offset:14800
	s_and_saveexec_b64 s[14:15], s[0:1]
	s_cbranch_execz .LBB0_9
; %bb.8:
	ds_read_b64 v[92:93], v173 offset:3000
	ds_read_b64 v[64:65], v173 offset:6200
	;; [unrolled: 1-line block ×5, first 2 shown]
.LBB0_9:
	s_or_b64 exec, exec, s[14:15]
	s_movk_i32 s12, 0xcd
	v_mul_lo_u16_sdwa v8, v174, s12 dst_sel:DWORD dst_unused:UNUSED_PAD src0_sel:BYTE_0 src1_sel:DWORD
	v_lshrrev_b16_e32 v70, 10, v8
	v_mul_lo_u16_e32 v8, 5, v70
	v_sub_u16_e32 v8, v174, v8
	v_and_b32_e32 v71, 0xff, v8
	v_lshlrev_b32_e32 v12, 5, v71
	global_load_dwordx4 v[8:11], v12, s[4:5] offset:16
	global_load_dwordx4 v[16:19], v12, s[4:5]
	v_mul_lo_u16_sdwa v12, v106, s12 dst_sel:DWORD dst_unused:UNUSED_PAD src0_sel:BYTE_0 src1_sel:DWORD
	v_lshrrev_b16_e32 v72, 10, v12
	v_mul_lo_u16_e32 v12, 5, v72
	v_sub_u16_e32 v12, v106, v12
	v_and_b32_e32 v73, 0xff, v12
	v_lshlrev_b32_e32 v24, 5, v73
	s_mov_b32 s12, 0xcccd
	global_load_dwordx4 v[12:15], v24, s[4:5] offset:16
	global_load_dwordx4 v[20:23], v24, s[4:5]
	v_mul_u32_u24_sdwa v24, v105, s12 dst_sel:DWORD dst_unused:UNUSED_PAD src0_sel:WORD_0 src1_sel:DWORD
	v_lshrrev_b32_e32 v74, 18, v24
	v_mul_lo_u16_e32 v24, 5, v74
	v_sub_u16_e32 v75, v105, v24
	v_lshlrev_b16_e32 v24, 2, v75
	v_lshlrev_b32_e32 v32, 3, v24
	global_load_dwordx4 v[28:31], v32, s[4:5]
	global_load_dwordx4 v[24:27], v32, s[4:5] offset:16
	v_mul_u32_u24_sdwa v32, v104, s12 dst_sel:DWORD dst_unused:UNUSED_PAD src0_sel:WORD_0 src1_sel:DWORD
	v_lshrrev_b32_e32 v76, 18, v32
	v_mul_lo_u16_e32 v32, 5, v76
	v_sub_u16_e32 v77, v104, v32
	v_lshlrev_b16_e32 v32, 2, v77
	v_lshlrev_b32_e32 v78, 3, v32
	global_load_dwordx4 v[36:39], v78, s[4:5]
	global_load_dwordx4 v[32:35], v78, s[4:5] offset:16
	s_waitcnt vmcnt(0) lgkmcnt(0)
	s_barrier
	v_mad_legacy_u16 v182, v76, 25, v77
	v_mul_f32_e32 v82, v43, v9
	v_mul_f32_e32 v80, v45, v19
	;; [unrolled: 1-line block ×4, first 2 shown]
	v_fma_f32 v80, v44, v18, -v80
	v_fmac_f32_e32 v81, v45, v18
	v_fma_f32 v45, v42, v8, -v82
	v_mul_f32_e32 v78, v3, v17
	v_mul_f32_e32 v85, v48, v11
	;; [unrolled: 1-line block ×3, first 2 shown]
	v_fmac_f32_e32 v79, v3, v16
	v_add_f32_e32 v3, v80, v45
	v_mul_f32_e32 v83, v42, v9
	v_mul_f32_e32 v84, v49, v11
	v_fmac_f32_e32 v85, v49, v10
	v_mul_f32_e32 v98, v41, v31
	v_mul_f32_e32 v99, v40, v31
	v_fma_f32 v82, v52, v20, -v86
	v_fma_f32 v86, v40, v30, -v98
	v_fma_f32 v40, -0.5, v3, v4
	v_mul_f32_e32 v87, v52, v21
	v_mul_f32_e32 v88, v47, v23
	v_fma_f32 v78, v2, v16, -v78
	v_fmac_f32_e32 v83, v43, v8
	v_fma_f32 v43, v48, v10, -v84
	v_sub_f32_e32 v3, v79, v85
	v_mov_b32_e32 v42, v40
	v_mul_f32_e32 v89, v46, v23
	v_fmac_f32_e32 v87, v53, v20
	v_fma_f32 v53, v46, v22, -v88
	v_fmac_f32_e32 v99, v41, v30
	v_fmac_f32_e32 v42, 0x3f737871, v3
	v_sub_f32_e32 v41, v81, v83
	v_sub_f32_e32 v44, v78, v80
	;; [unrolled: 1-line block ×3, first 2 shown]
	v_fmac_f32_e32 v40, 0xbf737871, v3
	v_mul_f32_e32 v108, v64, v37
	v_mul_f32_e32 v109, v67, v39
	;; [unrolled: 1-line block ×3, first 2 shown]
	v_fmac_f32_e32 v42, 0x3f167918, v41
	v_add_f32_e32 v44, v44, v46
	v_fmac_f32_e32 v40, 0xbf167918, v41
	v_mul_f32_e32 v101, v58, v25
	v_mul_f32_e32 v102, v69, v27
	;; [unrolled: 1-line block ×4, first 2 shown]
	v_fmac_f32_e32 v108, v65, v36
	v_fma_f32 v65, v66, v38, -v109
	v_fma_f32 v66, v60, v32, -v2
	v_mul_f32_e32 v2, v63, v35
	v_fmac_f32_e32 v42, 0x3e9e377a, v44
	v_fmac_f32_e32 v40, 0x3e9e377a, v44
	v_add_f32_e32 v44, v78, v43
	v_mul_f32_e32 v100, v59, v25
	v_mul_f32_e32 v103, v68, v27
	v_fmac_f32_e32 v101, v59, v24
	v_fma_f32 v59, v68, v26, -v102
	v_fma_f32 v68, v62, v34, -v2
	v_add_f32_e32 v2, v4, v78
	v_fma_f32 v4, -0.5, v44, v4
	v_mov_b32_e32 v44, v4
	v_fmac_f32_e32 v89, v47, v22
	v_add_f32_e32 v2, v2, v80
	v_fmac_f32_e32 v44, 0xbf737871, v41
	v_sub_f32_e32 v46, v80, v78
	v_sub_f32_e32 v47, v45, v43
	v_fmac_f32_e32 v4, 0x3f737871, v41
	v_add_f32_e32 v41, v81, v83
	v_add_f32_e32 v2, v2, v45
	v_fmac_f32_e32 v44, 0x3f167918, v3
	v_add_f32_e32 v46, v46, v47
	v_fmac_f32_e32 v4, 0xbf167918, v3
	v_fma_f32 v41, -0.5, v41, v5
	v_add_f32_e32 v2, v2, v43
	v_fmac_f32_e32 v44, 0x3e9e377a, v46
	v_fmac_f32_e32 v4, 0x3e9e377a, v46
	v_sub_f32_e32 v46, v78, v43
	v_mov_b32_e32 v43, v41
	v_fmac_f32_e32 v43, 0xbf737871, v46
	v_sub_f32_e32 v47, v80, v45
	v_sub_f32_e32 v45, v79, v81
	;; [unrolled: 1-line block ×3, first 2 shown]
	v_fmac_f32_e32 v41, 0x3f737871, v46
	v_fmac_f32_e32 v43, 0xbf167918, v47
	v_add_f32_e32 v45, v45, v48
	v_fmac_f32_e32 v41, 0x3f167918, v47
	v_fmac_f32_e32 v43, 0x3e9e377a, v45
	;; [unrolled: 1-line block ×3, first 2 shown]
	v_add_f32_e32 v45, v79, v85
	v_add_f32_e32 v3, v5, v79
	v_fma_f32 v5, -0.5, v45, v5
	v_mul_f32_e32 v90, v57, v13
	v_mov_b32_e32 v45, v5
	v_mul_f32_e32 v91, v56, v13
	v_fma_f32 v56, v56, v12, -v90
	v_fmac_f32_e32 v45, 0x3f737871, v47
	v_sub_f32_e32 v48, v81, v79
	v_sub_f32_e32 v49, v83, v85
	v_fmac_f32_e32 v5, 0xbf737871, v47
	v_mul_f32_e32 v95, v50, v15
	v_fmac_f32_e32 v45, 0xbf167918, v46
	v_add_f32_e32 v48, v48, v49
	v_fmac_f32_e32 v5, 0x3f167918, v46
	v_add_f32_e32 v47, v53, v56
	v_mul_f32_e32 v94, v51, v15
	v_fmac_f32_e32 v95, v51, v14
	v_fmac_f32_e32 v45, 0x3e9e377a, v48
	;; [unrolled: 1-line block ×3, first 2 shown]
	v_fma_f32 v48, -0.5, v47, v6
	v_fmac_f32_e32 v91, v57, v12
	v_fma_f32 v57, v50, v14, -v94
	v_sub_f32_e32 v47, v87, v95
	v_mov_b32_e32 v50, v48
	v_fmac_f32_e32 v50, 0x3f737871, v47
	v_sub_f32_e32 v49, v89, v91
	v_sub_f32_e32 v51, v82, v53
	;; [unrolled: 1-line block ×3, first 2 shown]
	v_fmac_f32_e32 v48, 0xbf737871, v47
	v_fmac_f32_e32 v50, 0x3f167918, v49
	v_add_f32_e32 v51, v51, v52
	v_fmac_f32_e32 v48, 0xbf167918, v49
	v_fmac_f32_e32 v50, 0x3e9e377a, v51
	;; [unrolled: 1-line block ×3, first 2 shown]
	v_add_f32_e32 v51, v82, v57
	v_add_f32_e32 v46, v6, v82
	v_fma_f32 v6, -0.5, v51, v6
	v_mul_f32_e32 v96, v55, v29
	v_mov_b32_e32 v52, v6
	v_mul_f32_e32 v97, v54, v29
	v_fma_f32 v84, v54, v28, -v96
	v_fmac_f32_e32 v52, 0xbf737871, v49
	v_sub_f32_e32 v51, v53, v82
	v_sub_f32_e32 v54, v56, v57
	v_fmac_f32_e32 v6, 0x3f737871, v49
	v_add_f32_e32 v49, v89, v91
	v_fmac_f32_e32 v52, 0x3f167918, v47
	v_add_f32_e32 v51, v51, v54
	v_fmac_f32_e32 v6, 0xbf167918, v47
	v_fma_f32 v49, -0.5, v49, v7
	v_add_f32_e32 v46, v46, v53
	v_fmac_f32_e32 v52, 0x3e9e377a, v51
	v_fmac_f32_e32 v6, 0x3e9e377a, v51
	v_sub_f32_e32 v54, v82, v57
	v_mov_b32_e32 v51, v49
	v_fmac_f32_e32 v97, v55, v28
	v_add_f32_e32 v46, v46, v56
	v_fmac_f32_e32 v51, 0xbf737871, v54
	v_sub_f32_e32 v55, v53, v56
	v_sub_f32_e32 v53, v87, v89
	;; [unrolled: 1-line block ×3, first 2 shown]
	v_fmac_f32_e32 v49, 0x3f737871, v54
	v_fmac_f32_e32 v51, 0xbf167918, v55
	v_add_f32_e32 v53, v53, v56
	v_fmac_f32_e32 v49, 0x3f167918, v55
	v_fmac_f32_e32 v51, 0x3e9e377a, v53
	;; [unrolled: 1-line block ×3, first 2 shown]
	v_add_f32_e32 v53, v87, v95
	v_add_f32_e32 v47, v7, v87
	v_fmac_f32_e32 v7, -0.5, v53
	v_mov_b32_e32 v53, v7
	v_fma_f32 v88, v58, v24, -v100
	v_add_f32_e32 v46, v46, v57
	v_fmac_f32_e32 v53, 0x3f737871, v55
	v_sub_f32_e32 v56, v89, v87
	v_sub_f32_e32 v57, v91, v95
	v_fmac_f32_e32 v7, 0xbf737871, v55
	v_fmac_f32_e32 v53, 0xbf167918, v54
	v_add_f32_e32 v56, v56, v57
	v_fmac_f32_e32 v7, 0x3f167918, v54
	v_add_f32_e32 v55, v86, v88
	v_fmac_f32_e32 v103, v69, v26
	v_fmac_f32_e32 v53, 0x3e9e377a, v56
	;; [unrolled: 1-line block ×3, first 2 shown]
	v_fma_f32 v56, -0.5, v55, v0
	v_fmac_f32_e32 v110, v67, v38
	v_mul_f32_e32 v67, v60, v33
	v_sub_f32_e32 v55, v97, v103
	v_mov_b32_e32 v58, v56
	v_fmac_f32_e32 v67, v61, v32
	v_fmac_f32_e32 v58, 0x3f737871, v55
	v_sub_f32_e32 v57, v99, v101
	v_sub_f32_e32 v60, v84, v86
	;; [unrolled: 1-line block ×3, first 2 shown]
	v_fmac_f32_e32 v56, 0xbf737871, v55
	v_fmac_f32_e32 v58, 0x3f167918, v57
	v_add_f32_e32 v60, v60, v61
	v_fmac_f32_e32 v56, 0xbf167918, v57
	v_fmac_f32_e32 v58, 0x3e9e377a, v60
	v_fmac_f32_e32 v56, 0x3e9e377a, v60
	v_add_f32_e32 v60, v84, v59
	v_add_f32_e32 v54, v0, v84
	v_fma_f32 v0, -0.5, v60, v0
	v_mov_b32_e32 v60, v0
	v_mul_f32_e32 v62, v62, v35
	v_add_f32_e32 v54, v54, v86
	v_fmac_f32_e32 v60, 0xbf737871, v57
	v_fmac_f32_e32 v0, 0x3f737871, v57
	v_add_f32_e32 v57, v99, v101
	v_fmac_f32_e32 v62, v63, v34
	v_add_f32_e32 v54, v54, v88
	v_sub_f32_e32 v61, v86, v84
	v_sub_f32_e32 v63, v88, v59
	v_fma_f32 v57, -0.5, v57, v1
	v_add_f32_e32 v54, v54, v59
	v_fmac_f32_e32 v60, 0x3f167918, v55
	v_add_f32_e32 v61, v61, v63
	v_fmac_f32_e32 v0, 0xbf167918, v55
	v_sub_f32_e32 v63, v84, v59
	v_mov_b32_e32 v59, v57
	v_fmac_f32_e32 v60, 0x3e9e377a, v61
	v_fmac_f32_e32 v0, 0x3e9e377a, v61
	;; [unrolled: 1-line block ×3, first 2 shown]
	v_sub_f32_e32 v69, v86, v88
	v_sub_f32_e32 v61, v97, v99
	;; [unrolled: 1-line block ×3, first 2 shown]
	v_fmac_f32_e32 v57, 0x3f737871, v63
	v_fmac_f32_e32 v59, 0xbf167918, v69
	v_add_f32_e32 v61, v61, v78
	v_fmac_f32_e32 v57, 0x3f167918, v69
	v_fmac_f32_e32 v59, 0x3e9e377a, v61
	;; [unrolled: 1-line block ×3, first 2 shown]
	v_add_f32_e32 v61, v97, v103
	v_add_f32_e32 v55, v1, v97
	v_fmac_f32_e32 v1, -0.5, v61
	v_mov_b32_e32 v61, v1
	v_fma_f32 v64, v64, v36, -v107
	v_fmac_f32_e32 v61, 0x3f737871, v69
	v_fmac_f32_e32 v1, 0xbf737871, v69
	;; [unrolled: 1-line block ×4, first 2 shown]
	v_add_f32_e32 v63, v92, v64
	v_add_f32_e32 v63, v63, v65
	;; [unrolled: 1-line block ×5, first 2 shown]
	v_sub_f32_e32 v78, v99, v97
	v_sub_f32_e32 v79, v101, v103
	v_fma_f32 v96, -0.5, v63, v92
	v_add_f32_e32 v78, v78, v79
	v_sub_f32_e32 v63, v108, v62
	v_mov_b32_e32 v98, v96
	v_fmac_f32_e32 v61, 0x3e9e377a, v78
	v_fmac_f32_e32 v1, 0x3e9e377a, v78
	;; [unrolled: 1-line block ×3, first 2 shown]
	v_sub_f32_e32 v69, v110, v67
	v_sub_f32_e32 v78, v64, v65
	;; [unrolled: 1-line block ×3, first 2 shown]
	v_fmac_f32_e32 v96, 0xbf737871, v63
	v_fmac_f32_e32 v98, 0x3f167918, v69
	v_add_f32_e32 v78, v78, v79
	v_fmac_f32_e32 v96, 0xbf167918, v69
	v_fmac_f32_e32 v98, 0x3e9e377a, v78
	;; [unrolled: 1-line block ×3, first 2 shown]
	v_add_f32_e32 v78, v64, v68
	v_fmac_f32_e32 v92, -0.5, v78
	v_mov_b32_e32 v100, v92
	v_fmac_f32_e32 v100, 0xbf737871, v69
	v_fmac_f32_e32 v92, 0x3f737871, v69
	v_fmac_f32_e32 v100, 0x3f167918, v63
	v_fmac_f32_e32 v92, 0xbf167918, v63
	v_add_f32_e32 v63, v93, v108
	v_add_f32_e32 v47, v47, v89
	;; [unrolled: 1-line block ×8, first 2 shown]
	v_fma_f32 v97, -0.5, v63, v93
	v_add_f32_e32 v55, v55, v99
	v_sub_f32_e32 v63, v64, v68
	v_mov_b32_e32 v99, v97
	v_sub_f32_e32 v78, v65, v64
	v_sub_f32_e32 v79, v66, v68
	v_fmac_f32_e32 v99, 0xbf737871, v63
	v_sub_f32_e32 v64, v65, v66
	v_sub_f32_e32 v65, v108, v110
	;; [unrolled: 1-line block ×3, first 2 shown]
	v_fmac_f32_e32 v97, 0x3f737871, v63
	v_fmac_f32_e32 v99, 0xbf167918, v64
	v_add_f32_e32 v65, v65, v66
	v_fmac_f32_e32 v97, 0x3f167918, v64
	v_fmac_f32_e32 v99, 0x3e9e377a, v65
	;; [unrolled: 1-line block ×3, first 2 shown]
	v_add_f32_e32 v65, v108, v62
	v_fmac_f32_e32 v93, -0.5, v65
	v_add_f32_e32 v55, v55, v101
	v_mov_b32_e32 v101, v93
	v_fmac_f32_e32 v101, 0x3f737871, v64
	v_sub_f32_e32 v65, v110, v108
	v_sub_f32_e32 v62, v67, v62
	v_fmac_f32_e32 v93, 0xbf737871, v64
	v_add_f32_e32 v3, v3, v81
	v_fmac_f32_e32 v101, 0xbf167918, v63
	v_add_f32_e32 v62, v65, v62
	;; [unrolled: 2-line block ×3, first 2 shown]
	v_fmac_f32_e32 v101, 0x3e9e377a, v62
	v_fmac_f32_e32 v93, 0x3e9e377a, v62
	v_mul_u32_u24_e32 v62, 25, v70
	v_add_f32_e32 v3, v3, v85
	v_add_lshl_u32 v179, v62, v71, 3
	ds_write2_b64 v179, v[2:3], v[42:43] offset1:5
	ds_write2_b64 v179, v[44:45], v[4:5] offset0:10 offset1:15
	ds_write_b64 v179, v[40:41] offset:160
	v_mul_u32_u24_e32 v2, 25, v72
	v_add_f32_e32 v78, v78, v79
	v_add_lshl_u32 v180, v2, v73, 3
	v_mad_legacy_u16 v2, v74, 25, v75
	v_add_f32_e32 v55, v55, v103
	v_fmac_f32_e32 v100, 0x3e9e377a, v78
	v_fmac_f32_e32 v92, 0x3e9e377a, v78
	v_lshlrev_b32_e32 v181, 3, v2
	ds_write2_b64 v180, v[46:47], v[50:51] offset1:5
	ds_write2_b64 v180, v[52:53], v[6:7] offset0:10 offset1:15
	ds_write_b64 v180, v[48:49] offset:160
	ds_write2_b64 v181, v[54:55], v[58:59] offset1:5
	ds_write2_b64 v181, v[60:61], v[0:1] offset0:10 offset1:15
	ds_write_b64 v181, v[56:57] offset:160
	s_and_saveexec_b64 s[14:15], s[0:1]
	s_cbranch_execz .LBB0_11
; %bb.10:
	v_lshlrev_b32_e32 v0, 3, v182
	ds_write2_b64 v0, v[94:95], v[98:99] offset1:5
	ds_write2_b64 v0, v[100:101], v[92:93] offset0:10 offset1:15
	ds_write_b64 v0, v[96:97] offset:160
.LBB0_11:
	s_or_b64 exec, exec, s[14:15]
	v_add_u32_e32 v0, 0x600, v173
	s_waitcnt lgkmcnt(0)
	s_barrier
	ds_read2_b64 v[64:67], v0 offset0:58 offset1:208
	v_add_u32_e32 v0, 0x1800, v173
	ds_read2_b64 v[84:87], v0 offset0:32 offset1:157
	v_add_u32_e32 v0, 0x2000, v173
	;; [unrolled: 2-line block ×5, first 2 shown]
	ds_read2_b64 v[68:71], v173 offset1:125
	ds_read2_b64 v[80:83], v0 offset0:45 offset1:170
	ds_read_b64 v[102:103], v173 offset:14800
	s_and_saveexec_b64 s[14:15], s[0:1]
	s_cbranch_execz .LBB0_13
; %bb.12:
	ds_read_b64 v[94:95], v173 offset:3000
	ds_read_b64 v[98:99], v173 offset:6200
	;; [unrolled: 1-line block ×5, first 2 shown]
.LBB0_13:
	s_or_b64 exec, exec, s[14:15]
	v_mov_b32_e32 v0, 41
	v_mul_lo_u16_sdwa v1, v174, v0 dst_sel:DWORD dst_unused:UNUSED_PAD src0_sel:BYTE_0 src1_sel:DWORD
	v_mul_lo_u16_sdwa v0, v106, v0 dst_sel:DWORD dst_unused:UNUSED_PAD src0_sel:BYTE_0 src1_sel:DWORD
	v_lshrrev_b16_e32 v107, 10, v1
	v_lshrrev_b16_e32 v109, 10, v0
	v_mul_lo_u16_e32 v1, 25, v107
	v_mul_lo_u16_e32 v0, 25, v109
	v_sub_u16_e32 v1, v174, v1
	v_sub_u16_e32 v0, v106, v0
	v_and_b32_e32 v108, 0xff, v1
	v_and_b32_e32 v106, 0xff, v0
	v_lshlrev_b32_e32 v1, 5, v108
	v_lshlrev_b32_e32 v0, 5, v106
	s_movk_i32 s12, 0x47af
	global_load_dwordx4 v[44:47], v1, s[4:5] offset:160
	global_load_dwordx4 v[40:43], v1, s[4:5] offset:176
	global_load_dwordx4 v[52:55], v0, s[4:5] offset:160
	global_load_dwordx4 v[48:51], v0, s[4:5] offset:176
	v_mul_u32_u24_sdwa v0, v105, s12 dst_sel:DWORD dst_unused:UNUSED_PAD src0_sel:WORD_0 src1_sel:DWORD
	v_sub_u16_sdwa v1, v105, v0 dst_sel:DWORD dst_unused:UNUSED_PAD src0_sel:DWORD src1_sel:WORD_1
	v_lshrrev_b16_e32 v1, 1, v1
	v_add_u16_sdwa v0, v1, v0 dst_sel:DWORD dst_unused:UNUSED_PAD src0_sel:DWORD src1_sel:WORD_1
	v_lshrrev_b16_e32 v110, 4, v0
	v_mul_lo_u16_e32 v0, 25, v110
	v_sub_u16_e32 v105, v105, v0
	v_lshlrev_b16_e32 v0, 5, v105
	v_mov_b32_e32 v2, s5
	v_add_co_u32_e32 v0, vcc, s4, v0
	v_addc_co_u32_e32 v1, vcc, 0, v2, vcc
	global_load_dwordx4 v[60:63], v[0:1], off offset:160
	global_load_dwordx4 v[56:59], v[0:1], off offset:176
	v_mul_u32_u24_sdwa v0, v104, s12 dst_sel:DWORD dst_unused:UNUSED_PAD src0_sel:WORD_0 src1_sel:DWORD
	v_sub_u16_sdwa v1, v104, v0 dst_sel:DWORD dst_unused:UNUSED_PAD src0_sel:DWORD src1_sel:WORD_1
	v_lshrrev_b16_e32 v1, 1, v1
	v_add_u16_sdwa v0, v1, v0 dst_sel:DWORD dst_unused:UNUSED_PAD src0_sel:DWORD src1_sel:WORD_1
	v_lshrrev_b16_e32 v0, 4, v0
	v_mul_lo_u16_e32 v0, 25, v0
	v_sub_u16_e32 v104, v104, v0
	v_lshlrev_b16_e32 v0, 5, v104
	v_add_co_u32_e32 v0, vcc, s4, v0
	v_addc_co_u32_e32 v1, vcc, 0, v2, vcc
	global_load_dwordx4 v[4:7], v[0:1], off offset:160
	s_nop 0
	global_load_dwordx4 v[0:3], v[0:1], off offset:176
	v_mul_u32_u24_e32 v107, 0x7d, v107
	v_add_lshl_u32 v184, v107, v108, 3
	s_waitcnt vmcnt(0) lgkmcnt(0)
	s_barrier
	s_movk_i32 s12, 0x7d
	v_lshlrev_b32_e32 v183, 3, v104
	v_mul_f32_e32 v113, v85, v47
	v_mul_f32_e32 v114, v84, v47
	;; [unrolled: 1-line block ×6, first 2 shown]
	v_fma_f32 v113, v84, v46, -v113
	v_fmac_f32_e32 v114, v85, v46
	v_fma_f32 v85, v74, v40, -v115
	v_fma_f32 v115, v76, v52, -v119
	;; [unrolled: 1-line block ×3, first 2 shown]
	v_mul_f32_e32 v112, v66, v45
	v_mul_f32_e32 v118, v88, v43
	v_fma_f32 v111, v66, v44, -v111
	v_mul_f32_e32 v116, v74, v41
	v_mul_f32_e32 v156, v78, v61
	;; [unrolled: 1-line block ×3, first 2 shown]
	v_fmac_f32_e32 v156, v79, v60
	v_add_f32_e32 v79, v113, v85
	v_mul_f32_e32 v117, v89, v43
	v_mul_f32_e32 v157, v80, v49
	v_fmac_f32_e32 v112, v67, v44
	v_fmac_f32_e32 v118, v89, v42
	v_mul_f32_e32 v74, v83, v57
	v_fma_f32 v80, -0.5, v79, v68
	v_fmac_f32_e32 v116, v75, v40
	v_fma_f32 v88, v88, v42, -v117
	v_mul_f32_e32 v160, v82, v57
	v_fma_f32 v163, v82, v56, -v74
	v_sub_f32_e32 v79, v112, v118
	v_mov_b32_e32 v82, v80
	v_fmac_f32_e32 v157, v81, v48
	v_fmac_f32_e32 v160, v83, v56
	;; [unrolled: 1-line block ×3, first 2 shown]
	v_sub_f32_e32 v81, v114, v116
	v_sub_f32_e32 v83, v111, v113
	;; [unrolled: 1-line block ×3, first 2 shown]
	v_fmac_f32_e32 v80, 0xbf737871, v79
	v_fmac_f32_e32 v82, 0x3f167918, v81
	v_add_f32_e32 v83, v83, v84
	v_fmac_f32_e32 v80, 0xbf167918, v81
	v_fmac_f32_e32 v82, 0x3e9e377a, v83
	;; [unrolled: 1-line block ×3, first 2 shown]
	v_add_f32_e32 v83, v111, v88
	v_fma_f32 v161, v78, v60, -v66
	v_add_f32_e32 v78, v68, v111
	v_fma_f32 v68, -0.5, v83, v68
	v_mul_f32_e32 v154, v87, v55
	v_mov_b32_e32 v84, v68
	v_mul_f32_e32 v155, v86, v55
	v_fma_f32 v117, v86, v54, -v154
	v_fmac_f32_e32 v84, 0xbf737871, v81
	v_sub_f32_e32 v83, v113, v111
	v_sub_f32_e32 v86, v85, v88
	v_fmac_f32_e32 v68, 0x3f737871, v81
	v_add_f32_e32 v81, v114, v116
	v_add_f32_e32 v78, v78, v113
	v_fmac_f32_e32 v84, 0x3f167918, v79
	v_add_f32_e32 v83, v83, v86
	v_fmac_f32_e32 v68, 0xbf167918, v79
	v_fma_f32 v81, -0.5, v81, v69
	v_add_f32_e32 v78, v78, v85
	v_fmac_f32_e32 v84, 0x3e9e377a, v83
	v_fmac_f32_e32 v68, 0x3e9e377a, v83
	v_sub_f32_e32 v86, v111, v88
	v_mov_b32_e32 v83, v81
	v_fmac_f32_e32 v155, v87, v54
	v_add_f32_e32 v78, v78, v88
	v_fmac_f32_e32 v83, 0xbf737871, v86
	v_sub_f32_e32 v87, v113, v85
	v_sub_f32_e32 v85, v112, v114
	;; [unrolled: 1-line block ×3, first 2 shown]
	v_fmac_f32_e32 v81, 0x3f737871, v86
	v_fmac_f32_e32 v83, 0xbf167918, v87
	v_add_f32_e32 v85, v85, v88
	v_fmac_f32_e32 v81, 0x3f167918, v87
	v_fmac_f32_e32 v83, 0x3e9e377a, v85
	;; [unrolled: 1-line block ×3, first 2 shown]
	v_add_f32_e32 v85, v112, v118
	v_add_f32_e32 v79, v69, v112
	v_fma_f32 v69, -0.5, v85, v69
	v_mov_b32_e32 v85, v69
	v_fmac_f32_e32 v85, 0x3f737871, v87
	v_sub_f32_e32 v88, v114, v112
	v_sub_f32_e32 v89, v116, v118
	v_fmac_f32_e32 v69, 0xbf737871, v87
	v_mul_f32_e32 v153, v76, v53
	v_mul_f32_e32 v158, v91, v51
	;; [unrolled: 1-line block ×3, first 2 shown]
	v_fmac_f32_e32 v85, 0xbf167918, v86
	v_add_f32_e32 v88, v88, v89
	v_fmac_f32_e32 v69, 0x3f167918, v86
	v_add_f32_e32 v87, v117, v119
	v_fmac_f32_e32 v153, v77, v52
	v_fma_f32 v154, v90, v50, -v158
	v_fmac_f32_e32 v159, v91, v50
	v_mul_f32_e32 v158, v72, v63
	v_fmac_f32_e32 v85, 0x3e9e377a, v88
	v_fmac_f32_e32 v69, 0x3e9e377a, v88
	v_fma_f32 v88, -0.5, v87, v70
	v_mul_f32_e32 v67, v73, v63
	v_fmac_f32_e32 v158, v73, v62
	v_mul_f32_e32 v73, v93, v1
	v_sub_f32_e32 v87, v153, v159
	v_mov_b32_e32 v90, v88
	v_fma_f32 v73, v92, v0, -v73
	v_mul_f32_e32 v76, v92, v1
	v_fmac_f32_e32 v90, 0x3f737871, v87
	v_sub_f32_e32 v89, v155, v157
	v_sub_f32_e32 v91, v115, v117
	;; [unrolled: 1-line block ×3, first 2 shown]
	v_fmac_f32_e32 v88, 0xbf737871, v87
	v_fmac_f32_e32 v90, 0x3f167918, v89
	v_add_f32_e32 v91, v91, v92
	v_fmac_f32_e32 v88, 0xbf167918, v89
	v_fmac_f32_e32 v90, 0x3e9e377a, v91
	;; [unrolled: 1-line block ×3, first 2 shown]
	v_add_f32_e32 v91, v115, v154
	v_add_f32_e32 v86, v70, v115
	v_fma_f32 v70, -0.5, v91, v70
	v_mov_b32_e32 v92, v70
	v_mul_f32_e32 v75, v103, v59
	v_fmac_f32_e32 v76, v93, v0
	v_fmac_f32_e32 v92, 0xbf737871, v89
	v_sub_f32_e32 v91, v117, v115
	v_sub_f32_e32 v93, v119, v154
	v_fmac_f32_e32 v70, 0x3f737871, v89
	v_add_f32_e32 v89, v155, v157
	v_fma_f32 v164, v102, v58, -v75
	v_mul_f32_e32 v75, v97, v3
	v_fmac_f32_e32 v92, 0x3f167918, v87
	v_add_f32_e32 v91, v91, v93
	v_fmac_f32_e32 v70, 0xbf167918, v87
	v_fma_f32 v89, -0.5, v89, v71
	v_mul_f32_e32 v66, v99, v5
	v_fma_f32 v75, v96, v2, -v75
	v_mul_f32_e32 v77, v96, v3
	v_fmac_f32_e32 v92, 0x3e9e377a, v91
	v_fmac_f32_e32 v70, 0x3e9e377a, v91
	v_sub_f32_e32 v96, v115, v154
	v_mov_b32_e32 v91, v89
	v_fma_f32 v162, v72, v62, -v67
	v_fma_f32 v66, v98, v4, -v66
	v_mul_f32_e32 v72, v98, v5
	v_fmac_f32_e32 v77, v97, v2
	v_fmac_f32_e32 v91, 0xbf737871, v96
	v_sub_f32_e32 v97, v117, v119
	v_sub_f32_e32 v93, v153, v155
	;; [unrolled: 1-line block ×3, first 2 shown]
	v_fmac_f32_e32 v89, 0x3f737871, v96
	v_fmac_f32_e32 v91, 0xbf167918, v97
	v_add_f32_e32 v93, v93, v98
	v_fmac_f32_e32 v89, 0x3f167918, v97
	v_fmac_f32_e32 v91, 0x3e9e377a, v93
	;; [unrolled: 1-line block ×3, first 2 shown]
	v_add_f32_e32 v93, v153, v159
	v_add_f32_e32 v87, v71, v153
	v_fmac_f32_e32 v71, -0.5, v93
	v_mov_b32_e32 v93, v71
	v_fmac_f32_e32 v72, v99, v4
	v_fmac_f32_e32 v93, 0x3f737871, v97
	v_sub_f32_e32 v98, v155, v153
	v_sub_f32_e32 v99, v157, v159
	v_fmac_f32_e32 v71, 0xbf737871, v97
	v_mul_f32_e32 v165, v102, v59
	v_fmac_f32_e32 v93, 0xbf167918, v96
	v_add_f32_e32 v98, v98, v99
	v_fmac_f32_e32 v71, 0x3f167918, v96
	v_add_f32_e32 v97, v162, v163
	v_fmac_f32_e32 v165, v103, v58
	v_mul_f32_e32 v67, v101, v7
	v_fmac_f32_e32 v93, 0x3e9e377a, v98
	v_fmac_f32_e32 v71, 0x3e9e377a, v98
	v_fma_f32 v98, -0.5, v97, v64
	v_fma_f32 v67, v100, v6, -v67
	v_mul_f32_e32 v74, v100, v7
	v_sub_f32_e32 v97, v156, v165
	v_mov_b32_e32 v100, v98
	v_fmac_f32_e32 v74, v101, v6
	v_fmac_f32_e32 v100, 0x3f737871, v97
	v_sub_f32_e32 v99, v158, v160
	v_sub_f32_e32 v101, v161, v162
	;; [unrolled: 1-line block ×3, first 2 shown]
	v_fmac_f32_e32 v98, 0xbf737871, v97
	v_fmac_f32_e32 v100, 0x3f167918, v99
	v_add_f32_e32 v101, v101, v102
	v_fmac_f32_e32 v98, 0xbf167918, v99
	v_fmac_f32_e32 v100, 0x3e9e377a, v101
	;; [unrolled: 1-line block ×3, first 2 shown]
	v_add_f32_e32 v101, v161, v164
	v_add_f32_e32 v96, v64, v161
	v_fma_f32 v64, -0.5, v101, v64
	v_mov_b32_e32 v102, v64
	v_fmac_f32_e32 v102, 0xbf737871, v99
	v_sub_f32_e32 v101, v162, v161
	v_sub_f32_e32 v103, v163, v164
	v_fmac_f32_e32 v64, 0x3f737871, v99
	v_add_f32_e32 v99, v158, v160
	v_fmac_f32_e32 v102, 0x3f167918, v97
	v_add_f32_e32 v101, v101, v103
	v_fmac_f32_e32 v64, 0xbf167918, v97
	v_fma_f32 v99, -0.5, v99, v65
	v_fmac_f32_e32 v102, 0x3e9e377a, v101
	v_fmac_f32_e32 v64, 0x3e9e377a, v101
	v_sub_f32_e32 v111, v161, v164
	v_mov_b32_e32 v101, v99
	v_fmac_f32_e32 v101, 0xbf737871, v111
	v_sub_f32_e32 v112, v162, v163
	v_sub_f32_e32 v103, v156, v158
	v_sub_f32_e32 v113, v165, v160
	v_fmac_f32_e32 v99, 0x3f737871, v111
	v_fmac_f32_e32 v101, 0xbf167918, v112
	v_add_f32_e32 v103, v103, v113
	v_fmac_f32_e32 v99, 0x3f167918, v112
	v_fmac_f32_e32 v101, 0x3e9e377a, v103
	v_fmac_f32_e32 v99, 0x3e9e377a, v103
	v_add_f32_e32 v103, v156, v165
	v_add_f32_e32 v97, v65, v156
	v_fmac_f32_e32 v65, -0.5, v103
	v_mov_b32_e32 v103, v65
	v_fmac_f32_e32 v103, 0x3f737871, v112
	v_fmac_f32_e32 v65, 0xbf737871, v112
	v_add_f32_e32 v87, v87, v155
	v_fmac_f32_e32 v103, 0xbf167918, v111
	v_fmac_f32_e32 v65, 0x3f167918, v111
	v_add_f32_e32 v111, v67, v73
	v_add_f32_e32 v79, v79, v114
	v_add_f32_e32 v87, v87, v157
	v_sub_f32_e32 v113, v158, v156
	v_sub_f32_e32 v114, v160, v165
	v_fma_f32 v157, -0.5, v111, v94
	v_add_f32_e32 v113, v113, v114
	v_sub_f32_e32 v111, v72, v77
	v_mov_b32_e32 v155, v157
	v_fmac_f32_e32 v103, 0x3e9e377a, v113
	v_fmac_f32_e32 v65, 0x3e9e377a, v113
	;; [unrolled: 1-line block ×3, first 2 shown]
	v_sub_f32_e32 v112, v74, v76
	v_sub_f32_e32 v113, v66, v67
	;; [unrolled: 1-line block ×3, first 2 shown]
	v_fmac_f32_e32 v157, 0xbf737871, v111
	v_fmac_f32_e32 v155, 0x3f167918, v112
	v_add_f32_e32 v113, v113, v114
	v_fmac_f32_e32 v157, 0xbf167918, v112
	v_fmac_f32_e32 v155, 0x3e9e377a, v113
	;; [unrolled: 1-line block ×3, first 2 shown]
	v_add_f32_e32 v113, v66, v75
	v_fma_f32 v161, -0.5, v113, v94
	v_add_f32_e32 v87, v87, v159
	v_mov_b32_e32 v159, v161
	v_fmac_f32_e32 v159, 0xbf737871, v112
	v_fmac_f32_e32 v161, 0x3f737871, v112
	;; [unrolled: 1-line block ×4, first 2 shown]
	v_add_f32_e32 v111, v74, v76
	v_add_f32_e32 v97, v97, v158
	v_sub_f32_e32 v113, v67, v66
	v_sub_f32_e32 v114, v73, v75
	v_fma_f32 v158, -0.5, v111, v95
	v_add_f32_e32 v113, v113, v114
	v_sub_f32_e32 v111, v66, v75
	v_mov_b32_e32 v156, v158
	v_fmac_f32_e32 v159, 0x3e9e377a, v113
	v_fmac_f32_e32 v161, 0x3e9e377a, v113
	;; [unrolled: 1-line block ×3, first 2 shown]
	v_sub_f32_e32 v112, v67, v73
	v_sub_f32_e32 v113, v72, v74
	;; [unrolled: 1-line block ×3, first 2 shown]
	v_fmac_f32_e32 v158, 0x3f737871, v111
	v_fmac_f32_e32 v156, 0xbf167918, v112
	v_add_f32_e32 v113, v113, v114
	v_fmac_f32_e32 v158, 0x3f167918, v112
	v_fmac_f32_e32 v156, 0x3e9e377a, v113
	;; [unrolled: 1-line block ×3, first 2 shown]
	v_add_f32_e32 v113, v72, v77
	v_add_f32_e32 v79, v79, v116
	;; [unrolled: 1-line block ×3, first 2 shown]
	v_fma_f32 v162, -0.5, v113, v95
	v_add_f32_e32 v79, v79, v118
	v_add_f32_e32 v97, v97, v160
	v_mov_b32_e32 v160, v162
	v_add_f32_e32 v86, v86, v117
	v_fmac_f32_e32 v160, 0x3f737871, v112
	v_sub_f32_e32 v113, v74, v72
	v_sub_f32_e32 v114, v76, v77
	v_fmac_f32_e32 v162, 0xbf737871, v112
	ds_write2_b64 v184, v[78:79], v[82:83] offset1:25
	ds_write2_b64 v184, v[84:85], v[68:69] offset0:50 offset1:75
	ds_write_b64 v184, v[80:81] offset:800
	v_mul_u32_u24_e32 v68, 0x7d, v109
	v_add_f32_e32 v86, v86, v119
	v_add_f32_e32 v96, v96, v163
	v_fmac_f32_e32 v160, 0xbf167918, v111
	v_add_f32_e32 v113, v113, v114
	v_fmac_f32_e32 v162, 0x3f167918, v111
	v_add_lshl_u32 v185, v68, v106, 3
	v_mad_legacy_u16 v68, v110, s12, v105
	v_add_f32_e32 v86, v86, v154
	v_add_f32_e32 v96, v96, v164
	;; [unrolled: 1-line block ×3, first 2 shown]
	v_fmac_f32_e32 v160, 0x3e9e377a, v113
	v_fmac_f32_e32 v162, 0x3e9e377a, v113
	v_lshlrev_b32_e32 v186, 3, v68
	ds_write2_b64 v185, v[86:87], v[90:91] offset1:25
	ds_write2_b64 v185, v[92:93], v[70:71] offset0:50 offset1:75
	ds_write_b64 v185, v[88:89] offset:800
	ds_write2_b64 v186, v[96:97], v[100:101] offset1:25
	ds_write2_b64 v186, v[102:103], v[64:65] offset0:50 offset1:75
	ds_write_b64 v186, v[98:99] offset:800
	s_and_saveexec_b64 s[14:15], s[0:1]
	s_cbranch_execz .LBB0_15
; %bb.14:
	v_add_f32_e32 v64, v95, v72
	v_add_f32_e32 v64, v64, v74
	;; [unrolled: 1-line block ×8, first 2 shown]
	v_add_u32_e32 v66, 0x3800, v183
	ds_write2_b64 v66, v[64:65], v[155:156] offset0:83 offset1:108
	ds_write2_b64 v66, v[159:160], v[161:162] offset0:133 offset1:158
	ds_write_b64 v183, v[157:158] offset:15800
.LBB0_15:
	s_or_b64 exec, exec, s[14:15]
	v_mov_b32_e32 v65, s5
	s_movk_i32 s12, 0x78
	v_mov_b32_e32 v64, s4
	v_mad_u64_u32 v[92:93], s[4:5], v174, s12, v[64:65]
	s_waitcnt lgkmcnt(0)
	s_barrier
	global_load_dwordx4 v[84:87], v[92:93], off offset:960
	global_load_dwordx4 v[76:79], v[92:93], off offset:976
	;; [unrolled: 1-line block ×7, first 2 shown]
	global_load_dwordx2 v[153:154], v[92:93], off offset:1072
	ds_read2_b64 v[100:103], v173 offset1:125
	v_add_u32_e32 v191, 0x400, v173
	v_add_u32_e32 v99, 0xc00, v173
	;; [unrolled: 1-line block ×7, first 2 shown]
	ds_read2_b64 v[104:107], v191 offset0:122 offset1:247
	ds_read2_b64 v[108:111], v99 offset0:116 offset1:241
	;; [unrolled: 1-line block ×7, first 2 shown]
	v_mov_b32_e32 v92, s13
	v_addc_co_u32_e64 v192, vcc, 0, v92, s[2:3]
	s_movk_i32 s4, 0x3000
	s_movk_i32 s2, 0x3e80
	s_waitcnt vmcnt(7) lgkmcnt(7)
	v_mul_f32_e32 v92, v103, v85
	s_waitcnt lgkmcnt(6)
	v_mul_f32_e32 v171, v105, v87
	s_waitcnt vmcnt(6) lgkmcnt(5)
	v_mul_f32_e32 v195, v109, v79
	v_mul_f32_e32 v196, v108, v79
	s_waitcnt vmcnt(4) lgkmcnt(4)
	v_mul_f32_e32 v202, v114, v65
	s_waitcnt lgkmcnt(3)
	v_mul_f32_e32 v203, v117, v67
	v_mul_f32_e32 v204, v116, v67
	s_waitcnt vmcnt(2) lgkmcnt(1)
	v_mul_f32_e32 v212, v167, v83
	v_mul_f32_e32 v93, v102, v85
	v_mul_f32_e32 v172, v104, v87
	v_mul_f32_e32 v193, v107, v77
	v_mul_f32_e32 v194, v106, v77
	v_mul_f32_e32 v197, v111, v69
	v_mul_f32_e32 v198, v110, v69
	v_mul_f32_e32 v199, v113, v71
	v_mul_f32_e32 v200, v112, v71
	v_mul_f32_e32 v201, v115, v65
	v_mul_f32_e32 v206, v118, v89
	v_mul_f32_e32 v207, v164, v91
	v_mul_f32_e32 v208, v163, v91
	v_mul_f32_e32 v210, v165, v81
	v_mul_f32_e32 v211, v168, v83
	s_waitcnt vmcnt(1)
	v_mul_f32_e32 v214, v169, v73
	v_fma_f32 v92, v102, v84, -v92
	v_fma_f32 v102, v104, v86, -v171
	;; [unrolled: 1-line block ×3, first 2 shown]
	v_fmac_f32_e32 v196, v109, v78
	v_fmac_f32_e32 v202, v115, v64
	v_fma_f32 v108, v116, v66, -v203
	v_fmac_f32_e32 v204, v117, v66
	v_fmac_f32_e32 v212, v168, v82
	s_waitcnt lgkmcnt(0)
	v_mul_f32_e32 v115, v187, v75
	s_waitcnt vmcnt(0)
	v_mul_f32_e32 v117, v189, v154
	v_mul_f32_e32 v205, v119, v89
	;; [unrolled: 1-line block ×3, first 2 shown]
	v_fmac_f32_e32 v93, v103, v84
	v_fmac_f32_e32 v172, v105, v86
	v_fma_f32 v103, v106, v76, -v193
	v_fmac_f32_e32 v194, v107, v76
	v_fma_f32 v105, v110, v68, -v197
	;; [unrolled: 2-line block ×3, first 2 shown]
	v_fmac_f32_e32 v200, v113, v70
	v_fmac_f32_e32 v206, v119, v88
	v_fma_f32 v110, v163, v90, -v207
	v_fmac_f32_e32 v208, v164, v90
	v_fmac_f32_e32 v210, v166, v80
	v_fma_f32 v112, v167, v82, -v211
	v_fmac_f32_e32 v214, v170, v72
	v_fmac_f32_e32 v115, v188, v74
	;; [unrolled: 1-line block ×3, first 2 shown]
	v_sub_f32_e32 v108, v100, v108
	v_sub_f32_e32 v119, v196, v212
	v_mul_f32_e32 v209, v166, v81
	v_mul_f32_e32 v213, v170, v73
	v_fma_f32 v107, v114, v64, -v201
	v_fma_f32 v109, v118, v88, -v205
	;; [unrolled: 1-line block ×3, first 2 shown]
	v_sub_f32_e32 v118, v101, v204
	v_sub_f32_e32 v112, v104, v112
	v_fma_f32 v163, v196, 2.0, -v119
	v_sub_f32_e32 v110, v102, v110
	v_sub_f32_e32 v164, v172, v208
	;; [unrolled: 1-line block ×8, first 2 shown]
	v_fma_f32 v111, v165, v80, -v209
	v_fma_f32 v113, v169, v72, -v213
	v_mul_f32_e32 v116, v190, v154
	v_fma_f32 v100, v100, 2.0, -v108
	v_fma_f32 v104, v104, 2.0, -v112
	;; [unrolled: 1-line block ×3, first 2 shown]
	v_sub_f32_e32 v114, v106, v114
	v_fma_f32 v166, v200, 2.0, -v115
	v_sub_f32_e32 v109, v92, v109
	v_fma_f32 v93, v93, 2.0, -v167
	v_fma_f32 v169, v198, 2.0, -v168
	v_fma_f32 v171, v194, 2.0, -v170
	v_fma_f32 v172, v202, 2.0, -v117
	v_add_f32_e32 v112, v118, v112
	v_fma_f32 v108, v108, 2.0, -v119
	v_sub_f32_e32 v115, v110, v115
	v_fma_f32 v116, v189, v153, -v116
	v_fma_f32 v101, v101, 2.0, -v118
	v_fma_f32 v102, v102, 2.0, -v110
	;; [unrolled: 1-line block ×3, first 2 shown]
	v_sub_f32_e32 v113, v105, v113
	v_sub_f32_e32 v111, v103, v111
	v_fma_f32 v118, v118, 2.0, -v112
	v_add_f32_e32 v114, v164, v114
	v_fma_f32 v110, v110, 2.0, -v115
	v_sub_f32_e32 v169, v93, v169
	v_sub_f32_e32 v168, v109, v168
	;; [unrolled: 1-line block ×3, first 2 shown]
	v_mov_b32_e32 v188, v108
	v_fma_f32 v92, v92, 2.0, -v109
	v_fma_f32 v105, v105, 2.0, -v113
	v_sub_f32_e32 v116, v107, v116
	v_fma_f32 v164, v164, 2.0, -v114
	v_fma_f32 v93, v93, 2.0, -v169
	v_add_f32_e32 v113, v167, v113
	v_fma_f32 v109, v109, 2.0, -v168
	v_fma_f32 v171, v171, 2.0, -v172
	v_sub_f32_e32 v117, v111, v117
	v_fmac_f32_e32 v188, 0xbf3504f3, v110
	v_mov_b32_e32 v189, v118
	v_fma_f32 v103, v103, 2.0, -v111
	v_fma_f32 v107, v107, 2.0, -v116
	;; [unrolled: 1-line block ×3, first 2 shown]
	v_add_f32_e32 v116, v170, v116
	v_fma_f32 v111, v111, 2.0, -v117
	v_fmac_f32_e32 v189, 0xbf3504f3, v164
	v_fmac_f32_e32 v188, 0xbf3504f3, v164
	v_sub_f32_e32 v164, v93, v171
	v_mov_b32_e32 v171, v109
	v_sub_f32_e32 v104, v100, v104
	v_sub_f32_e32 v106, v102, v106
	v_sub_f32_e32 v166, v165, v166
	v_fma_f32 v170, v170, 2.0, -v116
	v_mov_b32_e32 v193, v119
	v_fmac_f32_e32 v171, 0xbf3504f3, v111
	v_mov_b32_e32 v195, v167
	v_fma_f32 v100, v100, 2.0, -v104
	v_fma_f32 v102, v102, 2.0, -v106
	;; [unrolled: 1-line block ×3, first 2 shown]
	v_sub_f32_e32 v105, v92, v105
	v_sub_f32_e32 v107, v103, v107
	v_fmac_f32_e32 v189, 0x3f3504f3, v110
	v_fma_f32 v108, v108, 2.0, -v188
	v_sub_f32_e32 v166, v104, v166
	v_fmac_f32_e32 v193, 0x3f3504f3, v115
	v_fmac_f32_e32 v195, 0xbf3504f3, v170
	;; [unrolled: 1-line block ×3, first 2 shown]
	v_sub_f32_e32 v163, v101, v163
	v_fma_f32 v92, v92, 2.0, -v105
	v_fma_f32 v103, v103, 2.0, -v107
	v_sub_f32_e32 v187, v100, v102
	v_fma_f32 v110, v118, 2.0, -v189
	v_fma_f32 v118, v104, 2.0, -v166
	v_mov_b32_e32 v194, v112
	v_fmac_f32_e32 v193, 0xbf3504f3, v114
	v_fmac_f32_e32 v195, 0x3f3504f3, v111
	v_fma_f32 v104, v109, 2.0, -v171
	v_mov_b32_e32 v102, v108
	v_add_f32_e32 v190, v163, v106
	v_fmac_f32_e32 v194, 0x3f3504f3, v114
	v_fma_f32 v114, v119, 2.0, -v193
	v_sub_f32_e32 v119, v92, v103
	v_fma_f32 v106, v167, 2.0, -v195
	v_sub_f32_e32 v170, v105, v172
	v_mov_b32_e32 v197, v113
	v_fmac_f32_e32 v102, 0xbf6c835e, v104
	v_mov_b32_e32 v103, v110
	v_fma_f32 v101, v101, 2.0, -v163
	v_fma_f32 v163, v163, 2.0, -v190
	v_fmac_f32_e32 v194, 0x3f3504f3, v115
	v_add_f32_e32 v172, v169, v107
	v_fma_f32 v109, v105, 2.0, -v170
	v_mov_b32_e32 v196, v168
	v_fmac_f32_e32 v197, 0x3f3504f3, v116
	v_fmac_f32_e32 v103, 0xbf6c835e, v106
	;; [unrolled: 1-line block ×3, first 2 shown]
	v_mov_b32_e32 v106, v118
	v_fma_f32 v115, v112, 2.0, -v194
	v_fma_f32 v111, v169, 2.0, -v172
	v_fmac_f32_e32 v196, 0x3f3504f3, v117
	v_fmac_f32_e32 v197, 0x3f3504f3, v117
	;; [unrolled: 1-line block ×3, first 2 shown]
	v_mov_b32_e32 v107, v163
	v_fmac_f32_e32 v196, 0xbf3504f3, v116
	v_fma_f32 v113, v113, 2.0, -v197
	v_fmac_f32_e32 v103, 0x3ec3ef15, v104
	v_fmac_f32_e32 v107, 0xbf3504f3, v111
	;; [unrolled: 1-line block ×3, first 2 shown]
	v_mov_b32_e32 v111, v115
	v_fma_f32 v112, v168, 2.0, -v196
	v_fma_f32 v105, v110, 2.0, -v103
	v_mov_b32_e32 v110, v114
	v_fmac_f32_e32 v111, 0xbec3ef15, v113
	v_mov_b32_e32 v167, v166
	v_sub_f32_e32 v165, v101, v165
	v_fmac_f32_e32 v110, 0xbec3ef15, v112
	v_fmac_f32_e32 v111, 0x3f6c835e, v112
	v_fmac_f32_e32 v167, 0x3f3504f3, v170
	v_fmac_f32_e32 v110, 0xbf6c835e, v113
	v_fma_f32 v113, v115, 2.0, -v111
	v_add_f32_e32 v115, v165, v119
	v_fmac_f32_e32 v167, 0xbf3504f3, v172
	v_fma_f32 v100, v100, 2.0, -v187
	v_fma_f32 v101, v101, 2.0, -v165
	;; [unrolled: 1-line block ×7, first 2 shown]
	v_mov_b32_e32 v118, v188
	v_mov_b32_e32 v119, v189
	;; [unrolled: 1-line block ×3, first 2 shown]
	v_fma_f32 v169, v166, 2.0, -v167
	v_mov_b32_e32 v165, v193
	v_mov_b32_e32 v166, v194
	v_sub_f32_e32 v92, v100, v92
	v_sub_f32_e32 v93, v101, v93
	v_fmac_f32_e32 v118, 0x3ec3ef15, v171
	v_fmac_f32_e32 v119, 0x3ec3ef15, v195
	;; [unrolled: 1-line block ×5, first 2 shown]
	v_fma_f32 v100, v100, 2.0, -v92
	v_fma_f32 v101, v101, 2.0, -v93
	v_fmac_f32_e32 v107, 0x3f3504f3, v109
	v_fma_f32 v112, v114, 2.0, -v110
	v_sub_f32_e32 v114, v187, v164
	v_fmac_f32_e32 v118, 0xbf6c835e, v195
	v_fmac_f32_e32 v119, 0x3f6c835e, v171
	;; [unrolled: 1-line block ×5, first 2 shown]
	v_fma_f32 v109, v163, 2.0, -v107
	v_fma_f32 v116, v187, 2.0, -v114
	;; [unrolled: 1-line block ×7, first 2 shown]
	ds_write2_b64 v173, v[100:101], v[104:105] offset1:125
	ds_write2_b64 v191, v[108:109], v[112:113] offset0:122 offset1:247
	ds_write2_b64 v99, v[116:117], v[163:164] offset0:116 offset1:241
	;; [unrolled: 1-line block ×7, first 2 shown]
	v_add_co_u32_e32 v92, vcc, s4, v120
	v_addc_co_u32_e32 v93, vcc, 0, v192, vcc
	s_waitcnt lgkmcnt(0)
	s_barrier
	global_load_dwordx2 v[100:101], v[92:93], off offset:3712
	v_add_co_u32_e32 v92, vcc, s2, v120
	v_addc_co_u32_e32 v93, vcc, 0, v192, vcc
	s_movk_i32 s2, 0x5000
	v_add_co_u32_e32 v104, vcc, s2, v120
	global_load_dwordx2 v[102:103], v[92:93], off offset:3200
	v_addc_co_u32_e32 v105, vcc, 0, v192, vcc
	global_load_dwordx2 v[117:118], v[104:105], off offset:1920
	s_movk_i32 s2, 0x6000
	v_add_co_u32_e32 v106, vcc, s2, v120
	v_addc_co_u32_e32 v107, vcc, 0, v192, vcc
	global_load_dwordx2 v[163:164], v[106:107], off offset:1024
	s_movk_i32 s2, 0x7000
	v_add_co_u32_e32 v108, vcc, s2, v120
	v_addc_co_u32_e32 v109, vcc, 0, v192, vcc
	global_load_dwordx2 v[171:172], v[108:109], off offset:128
	global_load_dwordx2 v[187:188], v[92:93], off offset:1000
	s_movk_i32 s2, 0x4000
	v_add_co_u32_e32 v110, vcc, s2, v120
	v_addc_co_u32_e32 v111, vcc, 0, v192, vcc
	global_load_dwordx2 v[189:190], v[110:111], off offset:3816
	global_load_dwordx2 v[191:192], v[104:105], off offset:2920
	;; [unrolled: 1-line block ×9, first 2 shown]
	ds_read2_b64 v[104:107], v173 offset1:125
	s_waitcnt vmcnt(14) lgkmcnt(0)
	v_mul_f32_e32 v108, v105, v101
	v_mul_f32_e32 v109, v104, v101
	v_fma_f32 v108, v104, v100, -v108
	v_fmac_f32_e32 v109, v105, v100
	ds_write_b64 v173, v[108:109]
	v_add_u32_e32 v101, 0x600, v173
	ds_read2_b64 v[109:112], v101 offset0:58 offset1:208
	v_add_u32_e32 v100, 0x1800, v173
	ds_read2_b64 v[113:116], v100 offset0:32 offset1:157
	v_add_u32_e32 v105, 0x1000, v173
	v_add_u32_e32 v108, 0x2800, v173
	s_waitcnt vmcnt(13) lgkmcnt(1)
	v_mul_f32_e32 v104, v112, v103
	v_mul_f32_e32 v208, v111, v103
	v_fma_f32 v207, v111, v102, -v104
	v_fmac_f32_e32 v208, v112, v102
	s_waitcnt vmcnt(12) lgkmcnt(0)
	v_mul_f32_e32 v102, v114, v118
	v_fma_f32 v209, v113, v117, -v102
	v_add_u32_e32 v102, 0x2000, v173
	ds_read2_b64 v[167:170], v102 offset0:26 offset1:176
	v_mul_f32_e32 v210, v113, v118
	v_add_u32_e32 v104, 0x3000, v173
	v_fmac_f32_e32 v210, v114, v117
	ds_read2_b64 v[111:114], v104 offset0:64 offset1:189
	s_waitcnt vmcnt(11) lgkmcnt(1)
	v_mul_f32_e32 v103, v170, v164
	v_fma_f32 v117, v169, v163, -v103
	v_mul_f32_e32 v118, v169, v164
	v_fmac_f32_e32 v118, v170, v163
	s_waitcnt vmcnt(10) lgkmcnt(0)
	v_mul_f32_e32 v103, v112, v172
	v_mul_f32_e32 v164, v111, v172
	v_fma_f32 v163, v111, v171, -v103
	v_fmac_f32_e32 v164, v112, v171
	ds_read2_b64 v[169:172], v105 offset0:13 offset1:138
	s_waitcnt vmcnt(9)
	v_mul_f32_e32 v103, v107, v188
	v_mul_f32_e32 v112, v106, v188
	v_fma_f32 v111, v106, v187, -v103
	v_fmac_f32_e32 v112, v107, v187
	s_waitcnt vmcnt(8) lgkmcnt(0)
	v_mul_f32_e32 v103, v170, v190
	v_mul_f32_e32 v107, v169, v190
	v_fma_f32 v106, v169, v189, -v103
	v_fmac_f32_e32 v107, v170, v189
	ds_read2_b64 v[187:190], v108 offset0:45 offset1:170
	ds_write2_b64 v99, v[207:208], v[106:107] offset0:16 offset1:141
	s_waitcnt vmcnt(7)
	v_mul_f32_e32 v99, v116, v192
	v_mul_f32_e32 v107, v115, v192
	v_fma_f32 v106, v115, v191, -v99
	v_fmac_f32_e32 v107, v116, v191
	s_waitcnt vmcnt(6) lgkmcnt(1)
	v_mul_f32_e32 v99, v188, v194
	v_mul_f32_e32 v116, v187, v194
	v_fma_f32 v115, v187, v193, -v99
	v_fmac_f32_e32 v116, v188, v193
	s_waitcnt vmcnt(5)
	v_mul_f32_e32 v99, v113, v196
	ds_write2_b64 v98, v[117:118], v[115:116] offset0:48 offset1:173
	v_mul_f32_e32 v98, v114, v196
	v_fmac_f32_e32 v99, v114, v195
	s_waitcnt vmcnt(4)
	v_mul_f32_e32 v103, v110, v198
	v_mul_f32_e32 v114, v109, v198
	v_fma_f32 v98, v113, v195, -v98
	v_fma_f32 v113, v109, v197, -v103
	v_fmac_f32_e32 v114, v110, v197
	s_waitcnt vmcnt(2)
	v_mul_f32_e32 v103, v172, v202
	v_mul_f32_e32 v110, v171, v202
	v_fma_f32 v109, v171, v201, -v103
	v_fmac_f32_e32 v110, v172, v201
	ds_write2_b64 v97, v[109:110], v[209:210] offset0:10 offset1:160
	v_mul_f32_e32 v97, v168, v200
	v_mul_f32_e32 v110, v167, v200
	v_fma_f32 v109, v167, v199, -v97
	v_fmac_f32_e32 v110, v168, v199
	ds_write2_b64 v96, v[106:107], v[109:110] offset0:29 offset1:154
	ds_read_b64 v[96:97], v173 offset:14800
	s_waitcnt vmcnt(1)
	v_mul_f32_e32 v103, v190, v204
	v_mul_f32_e32 v107, v189, v204
	v_fma_f32 v106, v189, v203, -v103
	v_fmac_f32_e32 v107, v190, v203
	ds_write2_b64 v95, v[106:107], v[163:164] offset0:42 offset1:192
	s_waitcnt vmcnt(0) lgkmcnt(1)
	v_mul_f32_e32 v95, v97, v206
	v_fma_f32 v95, v96, v205, -v95
	v_mul_f32_e32 v96, v96, v206
	v_fmac_f32_e32 v96, v97, v205
	ds_write2_b64 v173, v[111:112], v[113:114] offset0:125 offset1:250
	ds_write2_b64 v94, v[98:99], v[95:96] offset0:61 offset1:186
	s_and_saveexec_b64 s[2:3], s[0:1]
	s_cbranch_execz .LBB0_17
; %bb.16:
	v_add_co_u32_e32 v96, vcc, 0x1000, v92
	v_addc_co_u32_e32 v97, vcc, 0, v93, vcc
	global_load_dwordx2 v[94:95], v[92:93], off offset:3000
	v_add_co_u32_e32 v98, vcc, 0x2000, v92
	global_load_dwordx2 v[96:97], v[96:97], off offset:2104
	v_addc_co_u32_e32 v99, vcc, 0, v93, vcc
	global_load_dwordx2 v[98:99], v[98:99], off offset:1208
	v_add_co_u32_e32 v92, vcc, s4, v92
	v_addc_co_u32_e32 v93, vcc, 0, v93, vcc
	global_load_dwordx2 v[106:107], v[92:93], off offset:312
	s_nop 0
	global_load_dwordx2 v[92:93], v[92:93], off offset:3512
	ds_read_b64 v[109:110], v173 offset:3000
	ds_read_b64 v[111:112], v173 offset:6200
	;; [unrolled: 1-line block ×5, first 2 shown]
	s_waitcnt vmcnt(4) lgkmcnt(4)
	v_mul_f32_e32 v103, v110, v95
	v_mul_f32_e32 v164, v109, v95
	v_fma_f32 v163, v109, v94, -v103
	v_fmac_f32_e32 v164, v110, v94
	s_waitcnt vmcnt(3) lgkmcnt(3)
	v_mul_f32_e32 v94, v112, v97
	v_mul_f32_e32 v95, v111, v97
	v_fma_f32 v94, v111, v96, -v94
	v_fmac_f32_e32 v95, v112, v96
	s_waitcnt vmcnt(2) lgkmcnt(2)
	v_mul_f32_e32 v97, v114, v99
	v_mul_f32_e32 v96, v113, v99
	ds_write_b64 v173, v[94:95] offset:6200
	v_fma_f32 v95, v113, v98, -v97
	v_fmac_f32_e32 v96, v114, v98
	s_waitcnt vmcnt(1) lgkmcnt(2)
	v_mul_f32_e32 v98, v116, v107
	v_mul_f32_e32 v94, v115, v107
	s_waitcnt vmcnt(0) lgkmcnt(1)
	v_mul_f32_e32 v99, v118, v93
	v_mul_f32_e32 v97, v117, v93
	v_fma_f32 v93, v115, v106, -v98
	v_fmac_f32_e32 v94, v116, v106
	ds_write_b64 v173, v[163:164] offset:3000
	ds_write_b64 v173, v[95:96] offset:9400
	v_fma_f32 v96, v117, v92, -v99
	v_fmac_f32_e32 v97, v118, v92
	ds_write_b64 v173, v[93:94] offset:12600
	ds_write_b64 v173, v[96:97] offset:15800
.LBB0_17:
	s_or_b64 exec, exec, s[2:3]
	s_waitcnt lgkmcnt(0)
	s_barrier
	ds_read2_b64 v[96:99], v173 offset1:125
	ds_read2_b64 v[92:95], v101 offset0:58 offset1:208
	ds_read2_b64 v[112:115], v100 offset0:32 offset1:157
	;; [unrolled: 1-line block ×6, first 2 shown]
	ds_read_b64 v[163:164], v173 offset:14800
	s_and_saveexec_b64 s[2:3], s[0:1]
	s_cbranch_execz .LBB0_19
; %bb.18:
	ds_read_b64 v[165:166], v173 offset:3000
	ds_read_b64 v[155:156], v173 offset:6200
	ds_read_b64 v[159:160], v173 offset:9400
	ds_read_b64 v[161:162], v173 offset:12600
	ds_read_b64 v[157:158], v173 offset:15800
.LBB0_19:
	s_or_b64 exec, exec, s[2:3]
	s_waitcnt lgkmcnt(6)
	v_add_f32_e32 v167, v96, v94
	s_waitcnt lgkmcnt(5)
	v_add_f32_e32 v167, v167, v112
	;; [unrolled: 2-line block ×4, first 2 shown]
	v_add_f32_e32 v167, v112, v102
	v_fma_f32 v189, -0.5, v167, v96
	v_sub_f32_e32 v167, v95, v117
	v_mov_b32_e32 v191, v189
	v_fmac_f32_e32 v191, 0xbf737871, v167
	v_sub_f32_e32 v168, v113, v103
	v_sub_f32_e32 v169, v94, v112
	;; [unrolled: 1-line block ×3, first 2 shown]
	v_fmac_f32_e32 v189, 0x3f737871, v167
	v_fmac_f32_e32 v191, 0xbf167918, v168
	v_add_f32_e32 v169, v169, v170
	v_fmac_f32_e32 v189, 0x3f167918, v168
	v_fmac_f32_e32 v191, 0x3e9e377a, v169
	;; [unrolled: 1-line block ×3, first 2 shown]
	v_add_f32_e32 v169, v94, v116
	v_fma_f32 v96, -0.5, v169, v96
	v_mov_b32_e32 v193, v96
	v_fmac_f32_e32 v193, 0x3f737871, v168
	v_fmac_f32_e32 v96, 0xbf737871, v168
	v_fmac_f32_e32 v193, 0xbf167918, v167
	v_fmac_f32_e32 v96, 0x3f167918, v167
	v_add_f32_e32 v167, v97, v95
	v_add_f32_e32 v167, v167, v113
	;; [unrolled: 1-line block ×5, first 2 shown]
	v_fma_f32 v190, -0.5, v167, v97
	v_sub_f32_e32 v169, v112, v94
	v_sub_f32_e32 v94, v94, v116
	v_mov_b32_e32 v192, v190
	v_sub_f32_e32 v170, v102, v116
	v_fmac_f32_e32 v192, 0x3f737871, v94
	v_sub_f32_e32 v102, v112, v102
	v_sub_f32_e32 v112, v95, v113
	;; [unrolled: 1-line block ×3, first 2 shown]
	v_fmac_f32_e32 v190, 0xbf737871, v94
	v_fmac_f32_e32 v192, 0x3f167918, v102
	v_add_f32_e32 v112, v112, v116
	v_fmac_f32_e32 v190, 0xbf167918, v102
	v_fmac_f32_e32 v192, 0x3e9e377a, v112
	v_fmac_f32_e32 v190, 0x3e9e377a, v112
	v_add_f32_e32 v112, v95, v117
	v_fma_f32 v97, -0.5, v112, v97
	v_mov_b32_e32 v194, v97
	v_fmac_f32_e32 v194, 0xbf737871, v102
	v_sub_f32_e32 v95, v113, v95
	v_sub_f32_e32 v103, v103, v117
	v_fmac_f32_e32 v97, 0x3f737871, v102
	v_fmac_f32_e32 v194, 0x3f167918, v94
	v_add_f32_e32 v95, v95, v103
	v_fmac_f32_e32 v97, 0xbf167918, v94
	v_fmac_f32_e32 v194, 0x3e9e377a, v95
	;; [unrolled: 1-line block ×3, first 2 shown]
	s_waitcnt lgkmcnt(1)
	v_add_f32_e32 v95, v114, v108
	v_fma_f32 v102, -0.5, v95, v98
	v_sub_f32_e32 v95, v105, v119
	v_mov_b32_e32 v112, v102
	v_fmac_f32_e32 v112, 0xbf737871, v95
	v_sub_f32_e32 v103, v115, v109
	v_sub_f32_e32 v113, v104, v114
	;; [unrolled: 1-line block ×3, first 2 shown]
	v_fmac_f32_e32 v102, 0x3f737871, v95
	v_fmac_f32_e32 v112, 0xbf167918, v103
	v_add_f32_e32 v113, v113, v116
	v_fmac_f32_e32 v102, 0x3f167918, v103
	v_fmac_f32_e32 v112, 0x3e9e377a, v113
	;; [unrolled: 1-line block ×3, first 2 shown]
	v_add_f32_e32 v113, v104, v118
	v_add_f32_e32 v94, v98, v104
	v_fma_f32 v98, -0.5, v113, v98
	v_mov_b32_e32 v116, v98
	v_fmac_f32_e32 v116, 0x3f737871, v103
	v_sub_f32_e32 v113, v114, v104
	v_sub_f32_e32 v117, v108, v118
	v_fmac_f32_e32 v98, 0xbf737871, v103
	v_add_f32_e32 v103, v115, v109
	v_fmac_f32_e32 v116, 0xbf167918, v95
	v_add_f32_e32 v113, v113, v117
	v_fmac_f32_e32 v98, 0x3f167918, v95
	v_fma_f32 v103, -0.5, v103, v99
	v_add_f32_e32 v94, v94, v114
	v_fmac_f32_e32 v116, 0x3e9e377a, v113
	v_fmac_f32_e32 v98, 0x3e9e377a, v113
	v_sub_f32_e32 v104, v104, v118
	v_mov_b32_e32 v113, v103
	v_add_f32_e32 v94, v94, v108
	v_fmac_f32_e32 v113, 0x3f737871, v104
	v_sub_f32_e32 v108, v114, v108
	v_sub_f32_e32 v114, v105, v115
	;; [unrolled: 1-line block ×3, first 2 shown]
	v_fmac_f32_e32 v103, 0xbf737871, v104
	v_fmac_f32_e32 v113, 0x3f167918, v108
	v_add_f32_e32 v114, v114, v117
	v_fmac_f32_e32 v103, 0xbf167918, v108
	v_fmac_f32_e32 v113, 0x3e9e377a, v114
	;; [unrolled: 1-line block ×3, first 2 shown]
	v_add_f32_e32 v114, v105, v119
	v_add_f32_e32 v95, v99, v105
	v_fmac_f32_e32 v99, -0.5, v114
	v_add_f32_e32 v95, v95, v115
	v_mov_b32_e32 v117, v99
	v_add_f32_e32 v95, v95, v109
	v_fmac_f32_e32 v117, 0xbf737871, v108
	v_sub_f32_e32 v105, v115, v105
	v_sub_f32_e32 v109, v109, v119
	v_fmac_f32_e32 v99, 0x3f737871, v108
	v_fmac_f32_e32 v117, 0x3f167918, v104
	v_add_f32_e32 v105, v105, v109
	v_fmac_f32_e32 v99, 0xbf167918, v104
	v_fmac_f32_e32 v117, 0x3e9e377a, v105
	;; [unrolled: 1-line block ×3, first 2 shown]
	v_add_f32_e32 v105, v100, v110
	v_fma_f32 v108, -0.5, v105, v92
	s_waitcnt lgkmcnt(0)
	v_sub_f32_e32 v105, v107, v164
	v_mov_b32_e32 v114, v108
	v_add_f32_e32 v94, v94, v118
	v_fmac_f32_e32 v114, 0xbf737871, v105
	v_sub_f32_e32 v109, v101, v111
	v_sub_f32_e32 v115, v106, v100
	;; [unrolled: 1-line block ×3, first 2 shown]
	v_fmac_f32_e32 v108, 0x3f737871, v105
	v_fmac_f32_e32 v114, 0xbf167918, v109
	v_add_f32_e32 v115, v115, v118
	v_fmac_f32_e32 v108, 0x3f167918, v109
	v_fmac_f32_e32 v114, 0x3e9e377a, v115
	;; [unrolled: 1-line block ×3, first 2 shown]
	v_add_f32_e32 v115, v106, v163
	v_add_f32_e32 v104, v92, v106
	v_fma_f32 v92, -0.5, v115, v92
	v_mov_b32_e32 v118, v92
	v_add_f32_e32 v95, v95, v119
	v_fmac_f32_e32 v118, 0x3f737871, v109
	v_sub_f32_e32 v115, v100, v106
	v_sub_f32_e32 v119, v110, v163
	v_fmac_f32_e32 v92, 0xbf737871, v109
	v_add_f32_e32 v109, v101, v111
	v_fmac_f32_e32 v118, 0xbf167918, v105
	v_add_f32_e32 v115, v115, v119
	v_fmac_f32_e32 v92, 0x3f167918, v105
	v_fma_f32 v109, -0.5, v109, v93
	v_add_f32_e32 v104, v104, v100
	v_fmac_f32_e32 v118, 0x3e9e377a, v115
	v_fmac_f32_e32 v92, 0x3e9e377a, v115
	v_sub_f32_e32 v106, v106, v163
	v_mov_b32_e32 v115, v109
	v_add_f32_e32 v104, v104, v110
	v_fmac_f32_e32 v115, 0x3f737871, v106
	v_sub_f32_e32 v100, v100, v110
	v_sub_f32_e32 v110, v107, v101
	;; [unrolled: 1-line block ×3, first 2 shown]
	v_fmac_f32_e32 v109, 0xbf737871, v106
	v_fmac_f32_e32 v115, 0x3f167918, v100
	v_add_f32_e32 v110, v110, v119
	v_fmac_f32_e32 v109, 0xbf167918, v100
	v_fmac_f32_e32 v115, 0x3e9e377a, v110
	;; [unrolled: 1-line block ×3, first 2 shown]
	v_add_f32_e32 v110, v107, v164
	v_add_f32_e32 v105, v93, v107
	v_fmac_f32_e32 v93, -0.5, v110
	v_mov_b32_e32 v119, v93
	v_fmac_f32_e32 v119, 0xbf737871, v100
	v_fmac_f32_e32 v93, 0x3f737871, v100
	v_add_f32_e32 v100, v165, v155
	v_add_f32_e32 v100, v100, v159
	;; [unrolled: 1-line block ×8, first 2 shown]
	v_sub_f32_e32 v101, v101, v107
	v_sub_f32_e32 v107, v111, v164
	v_fma_f32 v167, -0.5, v100, v165
	v_fmac_f32_e32 v193, 0x3e9e377a, v169
	v_fmac_f32_e32 v96, 0x3e9e377a, v169
	;; [unrolled: 1-line block ×3, first 2 shown]
	v_add_f32_e32 v101, v101, v107
	v_fmac_f32_e32 v93, 0xbf167918, v106
	v_sub_f32_e32 v100, v156, v158
	v_mov_b32_e32 v169, v167
	v_fmac_f32_e32 v119, 0x3e9e377a, v101
	v_fmac_f32_e32 v93, 0x3e9e377a, v101
	;; [unrolled: 1-line block ×3, first 2 shown]
	v_sub_f32_e32 v101, v160, v162
	v_sub_f32_e32 v106, v155, v159
	v_sub_f32_e32 v107, v157, v161
	v_fmac_f32_e32 v167, 0x3f737871, v100
	v_fmac_f32_e32 v169, 0xbf167918, v101
	v_add_f32_e32 v106, v106, v107
	v_fmac_f32_e32 v167, 0x3f167918, v101
	v_fmac_f32_e32 v169, 0x3e9e377a, v106
	;; [unrolled: 1-line block ×3, first 2 shown]
	v_add_f32_e32 v106, v155, v157
	v_fmac_f32_e32 v165, -0.5, v106
	v_mov_b32_e32 v171, v165
	v_fmac_f32_e32 v171, 0x3f737871, v101
	v_fmac_f32_e32 v165, 0xbf737871, v101
	;; [unrolled: 1-line block ×4, first 2 shown]
	v_add_f32_e32 v100, v166, v156
	v_add_f32_e32 v100, v100, v160
	;; [unrolled: 1-line block ×7, first 2 shown]
	v_sub_f32_e32 v106, v159, v155
	v_sub_f32_e32 v107, v161, v157
	v_fma_f32 v168, -0.5, v100, v166
	v_add_f32_e32 v106, v106, v107
	v_sub_f32_e32 v100, v155, v157
	v_mov_b32_e32 v170, v168
	v_fmac_f32_e32 v171, 0x3e9e377a, v106
	v_fmac_f32_e32 v165, 0x3e9e377a, v106
	;; [unrolled: 1-line block ×3, first 2 shown]
	v_sub_f32_e32 v101, v159, v161
	v_sub_f32_e32 v106, v156, v160
	;; [unrolled: 1-line block ×3, first 2 shown]
	v_fmac_f32_e32 v168, 0xbf737871, v100
	v_fmac_f32_e32 v170, 0x3f167918, v101
	v_add_f32_e32 v106, v106, v107
	v_fmac_f32_e32 v168, 0xbf167918, v101
	v_fmac_f32_e32 v170, 0x3e9e377a, v106
	;; [unrolled: 1-line block ×3, first 2 shown]
	v_add_f32_e32 v106, v156, v158
	v_fmac_f32_e32 v166, -0.5, v106
	v_mov_b32_e32 v172, v166
	v_fmac_f32_e32 v172, 0xbf737871, v101
	v_sub_f32_e32 v106, v160, v156
	v_sub_f32_e32 v107, v162, v158
	v_fmac_f32_e32 v166, 0x3f737871, v101
	v_fmac_f32_e32 v172, 0x3f167918, v100
	v_add_f32_e32 v106, v106, v107
	v_fmac_f32_e32 v166, 0xbf167918, v100
	v_fmac_f32_e32 v172, 0x3e9e377a, v106
	;; [unrolled: 1-line block ×3, first 2 shown]
	s_barrier
	ds_write2_b64 v175, v[187:188], v[191:192] offset1:1
	ds_write2_b64 v175, v[193:194], v[96:97] offset0:2 offset1:3
	ds_write_b64 v175, v[189:190] offset:32
	ds_write2_b64 v176, v[94:95], v[112:113] offset1:1
	ds_write2_b64 v176, v[116:117], v[98:99] offset0:2 offset1:3
	ds_write_b64 v176, v[102:103] offset:32
	;; [unrolled: 3-line block ×3, first 2 shown]
	s_and_saveexec_b64 s[2:3], s[0:1]
	s_cbranch_execz .LBB0_21
; %bb.20:
	v_lshlrev_b32_e32 v92, 3, v178
	ds_write2_b64 v92, v[163:164], v[169:170] offset1:1
	ds_write2_b64 v92, v[171:172], v[165:166] offset0:2 offset1:3
	ds_write_b64 v92, v[167:168] offset:32
.LBB0_21:
	s_or_b64 exec, exec, s[2:3]
	v_add_u32_e32 v104, 0x3000, v173
	s_waitcnt lgkmcnt(0)
	s_barrier
	v_add_u32_e32 v100, 0x1800, v173
	ds_read2_b64 v[112:115], v104 offset0:64 offset1:189
	v_add_u32_e32 v104, 0x1000, v173
	v_add_u32_e32 v92, 0x600, v173
	ds_read2_b64 v[116:119], v100 offset0:32 offset1:157
	v_add_u32_e32 v100, 0x2000, v173
	ds_read2_b64 v[108:111], v104 offset0:13 offset1:138
	v_add_u32_e32 v104, 0x2800, v173
	ds_read2_b64 v[96:99], v173 offset1:125
	ds_read2_b64 v[92:95], v92 offset0:58 offset1:208
	ds_read2_b64 v[100:103], v100 offset0:26 offset1:176
	;; [unrolled: 1-line block ×3, first 2 shown]
	ds_read_b64 v[155:156], v173 offset:14800
	s_and_saveexec_b64 s[2:3], s[0:1]
	s_cbranch_execz .LBB0_23
; %bb.22:
	ds_read_b64 v[163:164], v173 offset:3000
	ds_read_b64 v[169:170], v173 offset:6200
	;; [unrolled: 1-line block ×5, first 2 shown]
.LBB0_23:
	s_or_b64 exec, exec, s[2:3]
	s_waitcnt lgkmcnt(3)
	v_mul_f32_e32 v157, v17, v95
	v_mul_f32_e32 v17, v17, v94
	v_fmac_f32_e32 v157, v16, v94
	v_fma_f32 v94, v16, v95, -v17
	v_mul_f32_e32 v17, v19, v117
	v_mul_f32_e32 v16, v19, v116
	s_waitcnt lgkmcnt(2)
	v_mul_f32_e32 v19, v9, v103
	v_mul_f32_e32 v9, v9, v102
	v_fmac_f32_e32 v19, v8, v102
	v_fma_f32 v95, v8, v103, -v9
	v_mul_f32_e32 v102, v11, v113
	v_mul_f32_e32 v8, v11, v112
	v_fmac_f32_e32 v102, v10, v112
	v_fma_f32 v103, v10, v113, -v8
	;; [unrolled: 4-line block ×3, first 2 shown]
	v_mul_f32_e32 v8, v23, v118
	v_fmac_f32_e32 v17, v18, v116
	v_fma_f32 v113, v22, v119, -v8
	s_waitcnt lgkmcnt(1)
	v_mul_f32_e32 v116, v13, v105
	v_mul_f32_e32 v8, v13, v104
	;; [unrolled: 1-line block ×3, first 2 shown]
	v_fmac_f32_e32 v116, v12, v104
	v_fma_f32 v104, v12, v105, -v8
	v_mul_f32_e32 v23, v15, v115
	v_mul_f32_e32 v8, v15, v114
	v_add_f32_e32 v9, v17, v19
	v_fmac_f32_e32 v23, v14, v114
	v_fma_f32 v105, v14, v115, -v8
	v_mul_f32_e32 v114, v29, v111
	v_mul_f32_e32 v8, v29, v110
	v_fma_f32 v10, -0.5, v9, v96
	v_fma_f32 v18, v18, v117, -v16
	v_fmac_f32_e32 v114, v28, v110
	v_fma_f32 v110, v28, v111, -v8
	v_mul_f32_e32 v111, v31, v101
	v_mul_f32_e32 v8, v31, v100
	v_sub_f32_e32 v9, v94, v103
	v_mov_b32_e32 v12, v10
	v_fmac_f32_e32 v111, v30, v100
	v_fma_f32 v100, v30, v101, -v8
	v_mul_f32_e32 v101, v25, v107
	v_mul_f32_e32 v8, v25, v106
	v_fmac_f32_e32 v12, 0xbf737871, v9
	v_sub_f32_e32 v11, v18, v95
	v_sub_f32_e32 v13, v157, v17
	;; [unrolled: 1-line block ×3, first 2 shown]
	v_fmac_f32_e32 v10, 0x3f737871, v9
	v_fmac_f32_e32 v101, v24, v106
	v_fma_f32 v106, v24, v107, -v8
	s_waitcnt lgkmcnt(0)
	v_mul_f32_e32 v8, v27, v155
	v_fmac_f32_e32 v12, 0xbf167918, v11
	v_add_f32_e32 v13, v13, v14
	v_fmac_f32_e32 v10, 0x3f167918, v11
	v_fma_f32 v107, v26, v156, -v8
	v_mul_f32_e32 v8, v37, v169
	v_fmac_f32_e32 v12, 0x3e9e377a, v13
	v_fmac_f32_e32 v10, 0x3e9e377a, v13
	v_add_f32_e32 v13, v157, v102
	v_fma_f32 v117, v36, v170, -v8
	v_mul_f32_e32 v8, v39, v171
	v_fma_f32 v14, -0.5, v13, v96
	v_fma_f32 v119, v38, v172, -v8
	v_mul_f32_e32 v8, v33, v165
	v_mov_b32_e32 v16, v14
	v_fmac_f32_e32 v109, v22, v118
	v_mul_f32_e32 v31, v27, v156
	v_mul_f32_e32 v118, v39, v172
	v_fma_f32 v156, v32, v166, -v8
	v_mul_f32_e32 v39, v35, v168
	v_mul_f32_e32 v8, v35, v167
	v_fmac_f32_e32 v16, 0x3f737871, v11
	v_sub_f32_e32 v13, v17, v157
	v_sub_f32_e32 v15, v19, v102
	v_fmac_f32_e32 v14, 0xbf737871, v11
	v_add_f32_e32 v11, v18, v95
	v_fmac_f32_e32 v39, v34, v167
	v_fma_f32 v34, v34, v168, -v8
	v_add_f32_e32 v8, v96, v157
	v_fmac_f32_e32 v16, 0xbf167918, v9
	v_add_f32_e32 v13, v13, v15
	v_fmac_f32_e32 v14, 0x3f167918, v9
	v_fma_f32 v11, -0.5, v11, v97
	v_add_f32_e32 v8, v8, v17
	v_fmac_f32_e32 v16, 0x3e9e377a, v13
	v_fmac_f32_e32 v14, 0x3e9e377a, v13
	v_sub_f32_e32 v20, v157, v102
	v_mov_b32_e32 v13, v11
	v_add_f32_e32 v8, v8, v19
	v_fmac_f32_e32 v13, 0x3f737871, v20
	v_sub_f32_e32 v19, v17, v19
	v_sub_f32_e32 v15, v94, v18
	;; [unrolled: 1-line block ×3, first 2 shown]
	v_fmac_f32_e32 v11, 0xbf737871, v20
	v_fmac_f32_e32 v13, 0x3f167918, v19
	v_add_f32_e32 v15, v15, v17
	v_fmac_f32_e32 v11, 0xbf167918, v19
	v_fmac_f32_e32 v13, 0x3e9e377a, v15
	;; [unrolled: 1-line block ×3, first 2 shown]
	v_add_f32_e32 v15, v94, v103
	v_fma_f32 v15, -0.5, v15, v97
	v_mov_b32_e32 v17, v15
	v_fmac_f32_e32 v17, 0xbf737871, v19
	v_fmac_f32_e32 v15, 0x3f737871, v19
	v_add_f32_e32 v19, v109, v116
	v_add_f32_e32 v9, v97, v94
	v_fmac_f32_e32 v17, 0x3f167918, v20
	v_fmac_f32_e32 v15, 0xbf167918, v20
	v_fma_f32 v20, -0.5, v19, v98
	v_add_f32_e32 v9, v9, v18
	v_sub_f32_e32 v18, v18, v94
	v_sub_f32_e32 v21, v95, v103
	;; [unrolled: 1-line block ×3, first 2 shown]
	v_mov_b32_e32 v22, v20
	v_add_f32_e32 v18, v18, v21
	v_fmac_f32_e32 v22, 0xbf737871, v19
	v_sub_f32_e32 v21, v113, v104
	v_sub_f32_e32 v24, v112, v109
	v_sub_f32_e32 v25, v23, v116
	v_fmac_f32_e32 v20, 0x3f737871, v19
	v_fmac_f32_e32 v22, 0xbf167918, v21
	v_add_f32_e32 v24, v24, v25
	v_fmac_f32_e32 v20, 0x3f167918, v21
	v_fmac_f32_e32 v22, 0x3e9e377a, v24
	;; [unrolled: 1-line block ×3, first 2 shown]
	v_add_f32_e32 v24, v112, v23
	v_fmac_f32_e32 v17, 0x3e9e377a, v18
	v_fmac_f32_e32 v15, 0x3e9e377a, v18
	v_add_f32_e32 v18, v98, v112
	v_fma_f32 v98, -0.5, v24, v98
	v_mov_b32_e32 v24, v98
	v_add_f32_e32 v18, v18, v109
	v_fmac_f32_e32 v24, 0x3f737871, v21
	v_fmac_f32_e32 v98, 0xbf737871, v21
	v_add_f32_e32 v21, v113, v104
	v_fmac_f32_e32 v31, v26, v155
	v_add_f32_e32 v18, v18, v116
	v_sub_f32_e32 v25, v109, v112
	v_sub_f32_e32 v26, v116, v23
	v_fma_f32 v21, -0.5, v21, v99
	v_add_f32_e32 v18, v18, v23
	v_fmac_f32_e32 v24, 0xbf167918, v19
	v_add_f32_e32 v25, v25, v26
	v_fmac_f32_e32 v98, 0x3f167918, v19
	v_sub_f32_e32 v26, v112, v23
	v_mov_b32_e32 v23, v21
	v_fmac_f32_e32 v24, 0x3e9e377a, v25
	v_fmac_f32_e32 v98, 0x3e9e377a, v25
	;; [unrolled: 1-line block ×3, first 2 shown]
	v_sub_f32_e32 v27, v109, v116
	v_sub_f32_e32 v25, v108, v113
	;; [unrolled: 1-line block ×3, first 2 shown]
	v_fmac_f32_e32 v21, 0xbf737871, v26
	v_fmac_f32_e32 v23, 0x3f167918, v27
	v_add_f32_e32 v25, v25, v28
	v_fmac_f32_e32 v21, 0xbf167918, v27
	v_fmac_f32_e32 v23, 0x3e9e377a, v25
	;; [unrolled: 1-line block ×3, first 2 shown]
	v_add_f32_e32 v25, v108, v105
	v_add_f32_e32 v19, v99, v108
	v_fmac_f32_e32 v99, -0.5, v25
	v_mov_b32_e32 v25, v99
	v_fmac_f32_e32 v25, 0xbf737871, v27
	v_sub_f32_e32 v28, v113, v108
	v_sub_f32_e32 v29, v104, v105
	v_fmac_f32_e32 v99, 0x3f737871, v27
	v_fmac_f32_e32 v25, 0x3f167918, v26
	v_add_f32_e32 v28, v28, v29
	v_fmac_f32_e32 v99, 0xbf167918, v26
	v_add_f32_e32 v27, v111, v101
	v_fmac_f32_e32 v25, 0x3e9e377a, v28
	v_fmac_f32_e32 v99, 0x3e9e377a, v28
	v_fma_f32 v28, -0.5, v27, v92
	v_mul_f32_e32 v155, v33, v166
	v_sub_f32_e32 v27, v110, v107
	v_mov_b32_e32 v30, v28
	v_fmac_f32_e32 v155, v32, v165
	v_fmac_f32_e32 v30, 0xbf737871, v27
	v_sub_f32_e32 v29, v100, v106
	v_sub_f32_e32 v32, v114, v111
	;; [unrolled: 1-line block ×3, first 2 shown]
	v_fmac_f32_e32 v28, 0x3f737871, v27
	v_fmac_f32_e32 v30, 0xbf167918, v29
	v_add_f32_e32 v32, v32, v33
	v_fmac_f32_e32 v28, 0x3f167918, v29
	v_fmac_f32_e32 v30, 0x3e9e377a, v32
	;; [unrolled: 1-line block ×3, first 2 shown]
	v_add_f32_e32 v32, v114, v31
	v_add_f32_e32 v26, v92, v114
	v_fma_f32 v92, -0.5, v32, v92
	v_mov_b32_e32 v32, v92
	v_add_f32_e32 v26, v26, v111
	v_fmac_f32_e32 v32, 0x3f737871, v29
	v_fmac_f32_e32 v92, 0xbf737871, v29
	v_add_f32_e32 v29, v100, v106
	v_add_f32_e32 v26, v26, v101
	v_sub_f32_e32 v33, v111, v114
	v_sub_f32_e32 v35, v101, v31
	v_fma_f32 v29, -0.5, v29, v93
	v_mul_f32_e32 v115, v37, v170
	v_add_f32_e32 v26, v26, v31
	v_fmac_f32_e32 v32, 0xbf167918, v27
	v_add_f32_e32 v33, v33, v35
	v_fmac_f32_e32 v92, 0x3f167918, v27
	v_sub_f32_e32 v35, v114, v31
	v_mov_b32_e32 v31, v29
	v_fmac_f32_e32 v115, v36, v169
	v_fmac_f32_e32 v32, 0x3e9e377a, v33
	;; [unrolled: 1-line block ×4, first 2 shown]
	v_sub_f32_e32 v36, v111, v101
	v_sub_f32_e32 v33, v110, v100
	;; [unrolled: 1-line block ×3, first 2 shown]
	v_fmac_f32_e32 v29, 0xbf737871, v35
	v_fmac_f32_e32 v31, 0x3f167918, v36
	v_add_f32_e32 v33, v33, v37
	v_fmac_f32_e32 v29, 0xbf167918, v36
	v_fmac_f32_e32 v31, 0x3e9e377a, v33
	;; [unrolled: 1-line block ×3, first 2 shown]
	v_add_f32_e32 v33, v110, v107
	v_add_f32_e32 v27, v93, v110
	v_fmac_f32_e32 v93, -0.5, v33
	v_mov_b32_e32 v33, v93
	v_fmac_f32_e32 v33, 0xbf737871, v36
	v_fmac_f32_e32 v93, 0x3f737871, v36
	v_fmac_f32_e32 v118, v38, v171
	v_fmac_f32_e32 v33, 0x3f167918, v35
	v_fmac_f32_e32 v93, 0xbf167918, v35
	v_add_f32_e32 v35, v163, v115
	v_add_f32_e32 v35, v35, v118
	;; [unrolled: 1-line block ×5, first 2 shown]
	v_sub_f32_e32 v37, v100, v110
	v_sub_f32_e32 v38, v106, v107
	v_fma_f32 v94, -0.5, v35, v163
	v_add_f32_e32 v37, v37, v38
	v_sub_f32_e32 v35, v117, v34
	v_mov_b32_e32 v38, v94
	v_add_f32_e32 v9, v9, v95
	v_fmac_f32_e32 v33, 0x3e9e377a, v37
	v_fmac_f32_e32 v93, 0x3e9e377a, v37
	;; [unrolled: 1-line block ×3, first 2 shown]
	v_sub_f32_e32 v37, v119, v156
	v_sub_f32_e32 v95, v115, v118
	;; [unrolled: 1-line block ×3, first 2 shown]
	v_fmac_f32_e32 v94, 0x3f737871, v35
	v_fmac_f32_e32 v38, 0xbf167918, v37
	v_add_f32_e32 v95, v95, v96
	v_fmac_f32_e32 v94, 0x3f167918, v37
	v_fmac_f32_e32 v38, 0x3e9e377a, v95
	;; [unrolled: 1-line block ×3, first 2 shown]
	v_add_f32_e32 v95, v115, v39
	v_fmac_f32_e32 v163, -0.5, v95
	v_mov_b32_e32 v96, v163
	v_fmac_f32_e32 v96, 0x3f737871, v37
	v_fmac_f32_e32 v163, 0xbf737871, v37
	;; [unrolled: 1-line block ×4, first 2 shown]
	v_add_f32_e32 v35, v164, v117
	v_add_f32_e32 v35, v35, v119
	v_sub_f32_e32 v95, v118, v115
	v_sub_f32_e32 v97, v155, v39
	v_add_f32_e32 v35, v35, v156
	v_add_f32_e32 v95, v95, v97
	;; [unrolled: 1-line block ×4, first 2 shown]
	v_fmac_f32_e32 v96, 0x3e9e377a, v95
	v_fmac_f32_e32 v163, 0x3e9e377a, v95
	v_fma_f32 v95, -0.5, v35, v164
	v_sub_f32_e32 v35, v115, v39
	v_mov_b32_e32 v39, v95
	v_add_f32_e32 v27, v27, v100
	v_fmac_f32_e32 v39, 0x3f737871, v35
	v_sub_f32_e32 v100, v118, v155
	v_sub_f32_e32 v97, v117, v119
	;; [unrolled: 1-line block ×3, first 2 shown]
	v_fmac_f32_e32 v95, 0xbf737871, v35
	v_fmac_f32_e32 v39, 0x3f167918, v100
	v_add_f32_e32 v97, v97, v101
	v_fmac_f32_e32 v95, 0xbf167918, v100
	v_fmac_f32_e32 v39, 0x3e9e377a, v97
	;; [unrolled: 1-line block ×3, first 2 shown]
	v_add_f32_e32 v97, v117, v34
	v_fmac_f32_e32 v164, -0.5, v97
	v_mov_b32_e32 v97, v164
	v_fmac_f32_e32 v97, 0xbf737871, v100
	v_sub_f32_e32 v101, v119, v117
	v_sub_f32_e32 v34, v156, v34
	v_fmac_f32_e32 v164, 0x3f737871, v100
	v_add_f32_e32 v19, v19, v113
	v_fmac_f32_e32 v97, 0x3f167918, v35
	v_add_f32_e32 v34, v101, v34
	;; [unrolled: 2-line block ×3, first 2 shown]
	v_add_f32_e32 v9, v9, v103
	v_add_f32_e32 v19, v19, v104
	;; [unrolled: 1-line block ×3, first 2 shown]
	v_fmac_f32_e32 v97, 0x3e9e377a, v34
	v_fmac_f32_e32 v164, 0x3e9e377a, v34
	v_add_f32_e32 v19, v19, v105
	v_add_f32_e32 v27, v27, v107
	s_barrier
	ds_write2_b64 v179, v[8:9], v[12:13] offset1:5
	ds_write2_b64 v179, v[16:17], v[14:15] offset0:10 offset1:15
	ds_write_b64 v179, v[10:11] offset:160
	ds_write2_b64 v180, v[18:19], v[22:23] offset1:5
	ds_write2_b64 v180, v[24:25], v[98:99] offset0:10 offset1:15
	ds_write_b64 v180, v[20:21] offset:160
	ds_write2_b64 v181, v[26:27], v[30:31] offset1:5
	ds_write2_b64 v181, v[32:33], v[92:93] offset0:10 offset1:15
	ds_write_b64 v181, v[28:29] offset:160
	s_and_saveexec_b64 s[2:3], s[0:1]
	s_cbranch_execz .LBB0_25
; %bb.24:
	v_lshlrev_b32_e32 v8, 3, v182
	ds_write2_b64 v8, v[36:37], v[38:39] offset1:5
	ds_write2_b64 v8, v[96:97], v[163:164] offset0:10 offset1:15
	ds_write_b64 v8, v[94:95] offset:160
.LBB0_25:
	s_or_b64 exec, exec, s[2:3]
	v_add_u32_e32 v20, 0x3000, v173
	s_waitcnt lgkmcnt(0)
	s_barrier
	v_add_u32_e32 v16, 0x1800, v173
	ds_read2_b64 v[28:31], v20 offset0:64 offset1:189
	v_add_u32_e32 v20, 0x1000, v173
	v_add_u32_e32 v8, 0x600, v173
	ds_read2_b64 v[32:35], v16 offset0:32 offset1:157
	v_add_u32_e32 v16, 0x2000, v173
	ds_read2_b64 v[24:27], v20 offset0:13 offset1:138
	v_add_u32_e32 v20, 0x2800, v173
	ds_read2_b64 v[12:15], v173 offset1:125
	ds_read2_b64 v[8:11], v8 offset0:58 offset1:208
	ds_read2_b64 v[16:19], v16 offset0:26 offset1:176
	;; [unrolled: 1-line block ×3, first 2 shown]
	ds_read_b64 v[92:93], v173 offset:14800
	s_and_saveexec_b64 s[2:3], s[0:1]
	s_cbranch_execz .LBB0_27
; %bb.26:
	ds_read_b64 v[36:37], v173 offset:3000
	ds_read_b64 v[38:39], v173 offset:6200
	;; [unrolled: 1-line block ×5, first 2 shown]
.LBB0_27:
	s_or_b64 exec, exec, s[2:3]
	s_waitcnt lgkmcnt(3)
	v_mul_f32_e32 v98, v45, v11
	v_fmac_f32_e32 v98, v44, v10
	v_mul_f32_e32 v10, v45, v10
	v_fma_f32 v44, v44, v11, -v10
	v_mul_f32_e32 v45, v47, v33
	v_mul_f32_e32 v10, v47, v32
	v_fmac_f32_e32 v45, v46, v32
	v_fma_f32 v32, v46, v33, -v10
	s_waitcnt lgkmcnt(2)
	v_mul_f32_e32 v33, v41, v19
	v_mul_f32_e32 v10, v41, v18
	v_fmac_f32_e32 v33, v40, v18
	v_fma_f32 v40, v40, v19, -v10
	v_mul_f32_e32 v19, v43, v29
	v_mul_f32_e32 v10, v43, v28
	v_fmac_f32_e32 v19, v42, v28
	v_fma_f32 v28, v42, v29, -v10
	v_mul_f32_e32 v10, v53, v24
	v_fma_f32 v41, v52, v25, -v10
	v_mul_f32_e32 v42, v55, v35
	v_mul_f32_e32 v10, v55, v34
	v_fmac_f32_e32 v42, v54, v34
	v_fma_f32 v34, v54, v35, -v10
	s_waitcnt lgkmcnt(1)
	v_mul_f32_e32 v10, v49, v20
	v_fma_f32 v43, v48, v21, -v10
	v_mul_f32_e32 v46, v51, v31
	v_mul_f32_e32 v10, v51, v30
	;; [unrolled: 1-line block ×3, first 2 shown]
	v_fmac_f32_e32 v46, v50, v30
	v_fma_f32 v30, v50, v31, -v10
	v_mul_f32_e32 v10, v61, v26
	v_mul_f32_e32 v49, v63, v17
	v_add_f32_e32 v11, v45, v33
	v_fmac_f32_e32 v35, v48, v20
	v_fma_f32 v48, v60, v27, -v10
	v_fmac_f32_e32 v49, v62, v16
	v_mul_f32_e32 v10, v63, v16
	v_fma_f32 v16, -0.5, v11, v12
	v_sub_f32_e32 v11, v44, v28
	v_mov_b32_e32 v18, v16
	v_fma_f32 v50, v62, v17, -v10
	v_fmac_f32_e32 v18, 0xbf737871, v11
	v_sub_f32_e32 v17, v32, v40
	v_sub_f32_e32 v20, v98, v45
	;; [unrolled: 1-line block ×3, first 2 shown]
	v_fmac_f32_e32 v16, 0x3f737871, v11
	v_mul_f32_e32 v29, v53, v25
	v_mul_f32_e32 v10, v57, v22
	v_fmac_f32_e32 v18, 0xbf167918, v17
	v_add_f32_e32 v20, v20, v21
	v_fmac_f32_e32 v16, 0x3f167918, v17
	v_fmac_f32_e32 v29, v52, v24
	v_fma_f32 v52, v56, v23, -v10
	s_waitcnt lgkmcnt(0)
	v_mul_f32_e32 v10, v59, v92
	v_fmac_f32_e32 v18, 0x3e9e377a, v20
	v_fmac_f32_e32 v16, 0x3e9e377a, v20
	v_add_f32_e32 v20, v98, v19
	v_fma_f32 v54, v58, v93, -v10
	v_add_f32_e32 v10, v12, v98
	v_fma_f32 v12, -0.5, v20, v12
	v_mov_b32_e32 v20, v12
	v_mul_f32_e32 v51, v57, v23
	v_add_f32_e32 v10, v10, v45
	v_fmac_f32_e32 v20, 0x3f737871, v17
	v_fmac_f32_e32 v12, 0xbf737871, v17
	v_add_f32_e32 v17, v32, v40
	v_fmac_f32_e32 v51, v56, v22
	v_add_f32_e32 v10, v10, v33
	v_sub_f32_e32 v21, v45, v98
	v_sub_f32_e32 v22, v33, v19
	v_fma_f32 v17, -0.5, v17, v13
	v_add_f32_e32 v10, v10, v19
	v_fmac_f32_e32 v20, 0xbf167918, v11
	v_add_f32_e32 v21, v21, v22
	v_fmac_f32_e32 v12, 0x3f167918, v11
	v_sub_f32_e32 v22, v98, v19
	v_mov_b32_e32 v19, v17
	v_fmac_f32_e32 v20, 0x3e9e377a, v21
	v_fmac_f32_e32 v12, 0x3e9e377a, v21
	;; [unrolled: 1-line block ×3, first 2 shown]
	v_sub_f32_e32 v23, v45, v33
	v_sub_f32_e32 v21, v44, v32
	v_sub_f32_e32 v24, v28, v40
	v_fmac_f32_e32 v17, 0xbf737871, v22
	v_fmac_f32_e32 v19, 0x3f167918, v23
	v_add_f32_e32 v21, v21, v24
	v_fmac_f32_e32 v17, 0xbf167918, v23
	v_fmac_f32_e32 v19, 0x3e9e377a, v21
	;; [unrolled: 1-line block ×3, first 2 shown]
	v_add_f32_e32 v21, v44, v28
	v_add_f32_e32 v11, v13, v44
	v_fma_f32 v13, -0.5, v21, v13
	v_mov_b32_e32 v21, v13
	v_fmac_f32_e32 v21, 0xbf737871, v23
	v_sub_f32_e32 v24, v32, v44
	v_sub_f32_e32 v25, v40, v28
	v_fmac_f32_e32 v13, 0x3f737871, v23
	v_fmac_f32_e32 v21, 0x3f167918, v22
	v_add_f32_e32 v24, v24, v25
	v_fmac_f32_e32 v13, 0xbf167918, v22
	v_add_f32_e32 v23, v42, v35
	v_mul_f32_e32 v47, v61, v27
	v_add_f32_e32 v11, v11, v32
	v_fmac_f32_e32 v21, 0x3e9e377a, v24
	v_fmac_f32_e32 v13, 0x3e9e377a, v24
	v_fma_f32 v24, -0.5, v23, v14
	v_fmac_f32_e32 v47, v60, v26
	v_add_f32_e32 v11, v11, v40
	v_sub_f32_e32 v23, v41, v30
	v_mov_b32_e32 v26, v24
	v_add_f32_e32 v11, v11, v28
	v_fmac_f32_e32 v26, 0xbf737871, v23
	v_sub_f32_e32 v25, v34, v43
	v_sub_f32_e32 v27, v29, v42
	;; [unrolled: 1-line block ×3, first 2 shown]
	v_fmac_f32_e32 v24, 0x3f737871, v23
	v_fmac_f32_e32 v26, 0xbf167918, v25
	v_add_f32_e32 v27, v27, v28
	v_fmac_f32_e32 v24, 0x3f167918, v25
	v_fmac_f32_e32 v26, 0x3e9e377a, v27
	;; [unrolled: 1-line block ×3, first 2 shown]
	v_add_f32_e32 v27, v29, v46
	v_add_f32_e32 v22, v14, v29
	v_fma_f32 v14, -0.5, v27, v14
	v_mov_b32_e32 v28, v14
	v_fmac_f32_e32 v28, 0x3f737871, v25
	v_sub_f32_e32 v27, v42, v29
	v_sub_f32_e32 v31, v35, v46
	v_fmac_f32_e32 v14, 0xbf737871, v25
	v_add_f32_e32 v25, v34, v43
	v_fmac_f32_e32 v28, 0xbf167918, v23
	v_add_f32_e32 v27, v27, v31
	v_fmac_f32_e32 v14, 0x3f167918, v23
	v_fma_f32 v25, -0.5, v25, v15
	v_fmac_f32_e32 v28, 0x3e9e377a, v27
	v_fmac_f32_e32 v14, 0x3e9e377a, v27
	v_sub_f32_e32 v31, v29, v46
	v_mov_b32_e32 v27, v25
	v_fmac_f32_e32 v27, 0x3f737871, v31
	v_sub_f32_e32 v32, v42, v35
	v_sub_f32_e32 v29, v41, v34
	;; [unrolled: 1-line block ×3, first 2 shown]
	v_fmac_f32_e32 v25, 0xbf737871, v31
	v_fmac_f32_e32 v27, 0x3f167918, v32
	v_add_f32_e32 v29, v29, v33
	v_fmac_f32_e32 v25, 0xbf167918, v32
	v_fmac_f32_e32 v27, 0x3e9e377a, v29
	v_fmac_f32_e32 v25, 0x3e9e377a, v29
	v_add_f32_e32 v29, v41, v30
	v_add_f32_e32 v23, v15, v41
	v_fmac_f32_e32 v15, -0.5, v29
	v_mov_b32_e32 v29, v15
	v_fmac_f32_e32 v29, 0xbf737871, v32
	v_fmac_f32_e32 v15, 0x3f737871, v32
	v_add_f32_e32 v23, v23, v34
	v_fmac_f32_e32 v29, 0x3f167918, v31
	v_fmac_f32_e32 v15, 0xbf167918, v31
	v_add_f32_e32 v31, v49, v51
	v_mul_f32_e32 v53, v59, v93
	v_add_f32_e32 v23, v23, v43
	v_fma_f32 v32, -0.5, v31, v8
	v_fmac_f32_e32 v53, v58, v92
	v_add_f32_e32 v22, v22, v42
	v_add_f32_e32 v23, v23, v30
	v_sub_f32_e32 v33, v34, v41
	v_sub_f32_e32 v30, v43, v30
	v_sub_f32_e32 v31, v48, v54
	v_mov_b32_e32 v34, v32
	v_add_f32_e32 v22, v22, v35
	v_add_f32_e32 v30, v33, v30
	v_fmac_f32_e32 v34, 0xbf737871, v31
	v_sub_f32_e32 v33, v50, v52
	v_sub_f32_e32 v35, v47, v49
	;; [unrolled: 1-line block ×3, first 2 shown]
	v_fmac_f32_e32 v32, 0x3f737871, v31
	v_fmac_f32_e32 v34, 0xbf167918, v33
	v_add_f32_e32 v35, v35, v40
	v_fmac_f32_e32 v32, 0x3f167918, v33
	v_fmac_f32_e32 v34, 0x3e9e377a, v35
	;; [unrolled: 1-line block ×3, first 2 shown]
	v_add_f32_e32 v35, v47, v53
	v_fmac_f32_e32 v29, 0x3e9e377a, v30
	v_fmac_f32_e32 v15, 0x3e9e377a, v30
	v_add_f32_e32 v30, v8, v47
	v_fma_f32 v8, -0.5, v35, v8
	v_mov_b32_e32 v40, v8
	v_fmac_f32_e32 v40, 0x3f737871, v33
	v_sub_f32_e32 v35, v49, v47
	v_sub_f32_e32 v41, v51, v53
	v_fmac_f32_e32 v8, 0xbf737871, v33
	v_add_f32_e32 v33, v50, v52
	v_fmac_f32_e32 v40, 0xbf167918, v31
	v_add_f32_e32 v35, v35, v41
	v_fmac_f32_e32 v8, 0x3f167918, v31
	v_fma_f32 v33, -0.5, v33, v9
	v_fmac_f32_e32 v40, 0x3e9e377a, v35
	v_fmac_f32_e32 v8, 0x3e9e377a, v35
	v_sub_f32_e32 v42, v47, v53
	v_mov_b32_e32 v35, v33
	v_fmac_f32_e32 v35, 0x3f737871, v42
	v_sub_f32_e32 v43, v49, v51
	v_sub_f32_e32 v41, v48, v50
	;; [unrolled: 1-line block ×3, first 2 shown]
	v_fmac_f32_e32 v33, 0xbf737871, v42
	v_fmac_f32_e32 v35, 0x3f167918, v43
	v_add_f32_e32 v41, v41, v44
	v_fmac_f32_e32 v33, 0xbf167918, v43
	v_fmac_f32_e32 v35, 0x3e9e377a, v41
	;; [unrolled: 1-line block ×3, first 2 shown]
	v_add_f32_e32 v41, v48, v54
	v_add_f32_e32 v31, v9, v48
	v_fmac_f32_e32 v9, -0.5, v41
	v_mov_b32_e32 v41, v9
	v_add_f32_e32 v30, v30, v49
	v_add_f32_e32 v31, v31, v50
	v_fmac_f32_e32 v41, 0xbf737871, v43
	v_sub_f32_e32 v44, v50, v48
	v_sub_f32_e32 v45, v52, v54
	v_fmac_f32_e32 v9, 0x3f737871, v43
	v_add_f32_e32 v30, v30, v51
	v_add_f32_e32 v31, v31, v52
	v_fmac_f32_e32 v41, 0x3f167918, v42
	v_add_f32_e32 v44, v44, v45
	v_fmac_f32_e32 v9, 0xbf167918, v42
	v_add_f32_e32 v22, v22, v46
	v_add_f32_e32 v30, v30, v53
	;; [unrolled: 1-line block ×3, first 2 shown]
	v_fmac_f32_e32 v41, 0x3e9e377a, v44
	v_fmac_f32_e32 v9, 0x3e9e377a, v44
	s_barrier
	ds_write2_b64 v184, v[10:11], v[18:19] offset1:25
	ds_write2_b64 v184, v[20:21], v[12:13] offset0:50 offset1:75
	ds_write_b64 v184, v[16:17] offset:800
	ds_write2_b64 v185, v[22:23], v[26:27] offset1:25
	ds_write2_b64 v185, v[28:29], v[14:15] offset0:50 offset1:75
	ds_write_b64 v185, v[24:25] offset:800
	;; [unrolled: 3-line block ×3, first 2 shown]
	s_and_saveexec_b64 s[2:3], s[0:1]
	s_cbranch_execz .LBB0_29
; %bb.28:
	v_mul_f32_e32 v8, v7, v96
	v_mul_f32_e32 v10, v1, v163
	v_fma_f32 v9, v6, v97, -v8
	v_mul_f32_e32 v8, v5, v38
	v_fma_f32 v12, v0, v164, -v10
	;; [unrolled: 2-line block ×3, first 2 shown]
	v_fma_f32 v13, v2, v95, -v10
	v_mul_f32_e32 v14, v7, v97
	v_mul_f32_e32 v15, v1, v164
	v_add_f32_e32 v1, v11, v13
	v_mul_f32_e32 v16, v5, v39
	v_fmac_f32_e32 v14, v6, v96
	v_fmac_f32_e32 v15, v0, v163
	v_fma_f32 v1, -0.5, v1, v37
	v_fmac_f32_e32 v16, v4, v38
	v_mul_f32_e32 v4, v3, v95
	v_sub_f32_e32 v0, v14, v15
	v_mov_b32_e32 v6, v1
	v_fmac_f32_e32 v4, v2, v94
	v_sub_f32_e32 v3, v11, v9
	v_sub_f32_e32 v5, v13, v12
	v_sub_f32_e32 v8, v9, v11
	v_sub_f32_e32 v10, v12, v13
	v_fmac_f32_e32 v6, 0x3f737871, v0
	v_sub_f32_e32 v2, v16, v4
	v_fmac_f32_e32 v1, 0xbf737871, v0
	v_add_f32_e32 v5, v3, v5
	v_add_f32_e32 v3, v9, v12
	;; [unrolled: 1-line block ×3, first 2 shown]
	v_fmac_f32_e32 v6, 0xbf167918, v2
	v_fmac_f32_e32 v1, 0x3f167918, v2
	v_fma_f32 v3, -0.5, v3, v37
	v_fmac_f32_e32 v6, 0x3e9e377a, v8
	v_fmac_f32_e32 v1, 0x3e9e377a, v8
	v_mov_b32_e32 v8, v3
	v_fmac_f32_e32 v8, 0xbf737871, v2
	v_fmac_f32_e32 v3, 0x3f737871, v2
	;; [unrolled: 1-line block ×4, first 2 shown]
	v_add_f32_e32 v0, v37, v11
	v_add_f32_e32 v0, v0, v9
	;; [unrolled: 1-line block ×4, first 2 shown]
	v_sub_f32_e32 v0, v14, v16
	v_sub_f32_e32 v2, v15, v4
	v_add_f32_e32 v2, v0, v2
	v_add_f32_e32 v0, v16, v4
	v_fma_f32 v0, -0.5, v0, v36
	v_fmac_f32_e32 v8, 0x3e9e377a, v5
	v_fmac_f32_e32 v3, 0x3e9e377a, v5
	v_sub_f32_e32 v9, v9, v12
	v_mov_b32_e32 v5, v0
	v_sub_f32_e32 v11, v11, v13
	v_fmac_f32_e32 v5, 0xbf737871, v9
	v_fmac_f32_e32 v0, 0x3f737871, v9
	;; [unrolled: 1-line block ×6, first 2 shown]
	v_sub_f32_e32 v2, v16, v14
	v_sub_f32_e32 v7, v4, v15
	v_add_f32_e32 v12, v2, v7
	v_add_f32_e32 v2, v14, v15
	v_fma_f32 v2, -0.5, v2, v36
	v_mov_b32_e32 v7, v2
	v_fmac_f32_e32 v7, 0x3f737871, v11
	v_fmac_f32_e32 v2, 0xbf737871, v11
	v_fmac_f32_e32 v7, 0x3f167918, v9
	v_fmac_f32_e32 v2, 0xbf167918, v9
	v_add_f32_e32 v9, v36, v16
	v_add_f32_e32 v9, v9, v14
	;; [unrolled: 1-line block ×3, first 2 shown]
	v_fmac_f32_e32 v2, 0x3e9e377a, v12
	v_add_f32_e32 v9, v9, v4
	v_add_u32_e32 v4, 0x3800, v183
	v_fmac_f32_e32 v7, 0x3e9e377a, v12
	ds_write2_b64 v4, v[9:10], v[2:3] offset0:83 offset1:108
	ds_write2_b64 v4, v[0:1], v[5:6] offset0:133 offset1:158
	ds_write_b64 v183, v[7:8] offset:15800
.LBB0_29:
	s_or_b64 exec, exec, s[2:3]
	s_waitcnt lgkmcnt(0)
	s_barrier
	ds_read2_b64 v[0:3], v173 offset1:125
	v_add_u32_e32 v32, 0x400, v173
	ds_read2_b64 v[4:7], v32 offset0:122 offset1:247
	v_add_u32_e32 v33, 0xc00, v173
	ds_read2_b64 v[8:11], v33 offset0:116 offset1:241
	s_waitcnt lgkmcnt(2)
	v_mul_f32_e32 v39, v85, v3
	v_fmac_f32_e32 v39, v84, v2
	v_mul_f32_e32 v2, v85, v2
	v_fma_f32 v2, v84, v3, -v2
	s_waitcnt lgkmcnt(1)
	v_mul_f32_e32 v3, v87, v5
	v_fmac_f32_e32 v3, v86, v4
	v_mul_f32_e32 v4, v87, v4
	v_add_u32_e32 v34, 0x1400, v173
	v_fma_f32 v4, v86, v5, -v4
	v_mul_f32_e32 v5, v77, v7
	ds_read2_b64 v[12:15], v34 offset0:110 offset1:235
	v_fmac_f32_e32 v5, v76, v6
	v_mul_f32_e32 v6, v77, v6
	v_fma_f32 v6, v76, v7, -v6
	s_waitcnt lgkmcnt(1)
	v_mul_f32_e32 v7, v79, v9
	v_fmac_f32_e32 v7, v78, v8
	v_mul_f32_e32 v8, v79, v8
	v_add_u32_e32 v35, 0x1c00, v173
	v_fma_f32 v8, v78, v9, -v8
	v_mul_f32_e32 v9, v69, v11
	ds_read2_b64 v[16:19], v35 offset0:104 offset1:229
	;; [unrolled: 11-line block ×5, first 2 shown]
	v_fmac_f32_e32 v21, v80, v22
	v_mul_f32_e32 v22, v81, v22
	v_fma_f32 v22, v80, v23, -v22
	s_waitcnt lgkmcnt(1)
	v_mul_f32_e32 v23, v83, v25
	v_fmac_f32_e32 v23, v82, v24
	v_mul_f32_e32 v24, v83, v24
	v_fma_f32 v24, v82, v25, -v24
	v_mul_f32_e32 v25, v73, v27
	v_fmac_f32_e32 v25, v72, v26
	v_mul_f32_e32 v26, v73, v26
	v_fma_f32 v26, v72, v27, -v26
	s_waitcnt lgkmcnt(0)
	v_mul_f32_e32 v27, v75, v29
	v_fmac_f32_e32 v27, v74, v28
	v_mul_f32_e32 v28, v75, v28
	v_fma_f32 v28, v74, v29, -v28
	v_mul_f32_e32 v29, v154, v31
	v_fmac_f32_e32 v29, v153, v30
	v_mul_f32_e32 v30, v154, v30
	v_sub_f32_e32 v15, v0, v15
	v_sub_f32_e32 v16, v1, v16
	v_sub_f32_e32 v23, v7, v23
	v_sub_f32_e32 v24, v8, v24
	v_fma_f32 v30, v153, v31, -v30
	v_fma_f32 v7, v7, 2.0, -v23
	v_fma_f32 v8, v8, 2.0, -v24
	v_sub_f32_e32 v19, v3, v19
	v_sub_f32_e32 v20, v4, v20
	;; [unrolled: 1-line block ×8, first 2 shown]
	v_add_f32_e32 v24, v15, v24
	v_sub_f32_e32 v23, v16, v23
	v_fma_f32 v0, v0, 2.0, -v15
	v_fma_f32 v3, v3, 2.0, -v19
	;; [unrolled: 1-line block ×4, first 2 shown]
	v_sub_f32_e32 v18, v2, v18
	v_fma_f32 v31, v39, 2.0, -v17
	v_sub_f32_e32 v26, v10, v26
	v_fma_f32 v9, v9, 2.0, -v25
	;; [unrolled: 2-line block ×4, first 2 shown]
	v_fma_f32 v15, v15, 2.0, -v24
	v_add_f32_e32 v28, v19, v28
	v_sub_f32_e32 v27, v20, v27
	v_mov_b32_e32 v46, v23
	v_fma_f32 v1, v1, 2.0, -v16
	v_fma_f32 v4, v4, 2.0, -v20
	;; [unrolled: 1-line block ×6, first 2 shown]
	v_sub_f32_e32 v7, v0, v7
	v_fma_f32 v16, v16, 2.0, -v23
	v_sub_f32_e32 v11, v3, v11
	v_fma_f32 v19, v19, 2.0, -v28
	v_sub_f32_e32 v9, v31, v9
	v_sub_f32_e32 v13, v5, v13
	v_mov_b32_e32 v41, v15
	v_mov_b32_e32 v45, v24
	v_fmac_f32_e32 v46, 0x3f3504f3, v27
	v_sub_f32_e32 v8, v1, v8
	v_fma_f32 v0, v0, 2.0, -v7
	v_sub_f32_e32 v12, v4, v12
	v_fma_f32 v3, v3, 2.0, -v11
	v_fma_f32 v20, v20, 2.0, -v27
	v_sub_f32_e32 v10, v2, v10
	v_fma_f32 v31, v31, 2.0, -v9
	v_add_f32_e32 v26, v17, v26
	v_sub_f32_e32 v14, v6, v14
	v_fma_f32 v5, v5, 2.0, -v13
	v_fmac_f32_e32 v41, 0xbf3504f3, v19
	v_mov_b32_e32 v42, v16
	v_fmac_f32_e32 v45, 0x3f3504f3, v28
	v_fmac_f32_e32 v46, 0xbf3504f3, v28
	v_fma_f32 v1, v1, 2.0, -v8
	v_fma_f32 v4, v4, 2.0, -v12
	v_fma_f32 v2, v2, 2.0, -v10
	v_sub_f32_e32 v25, v18, v25
	v_fma_f32 v17, v17, 2.0, -v26
	v_fma_f32 v6, v6, 2.0, -v14
	v_add_f32_e32 v30, v21, v30
	v_sub_f32_e32 v39, v0, v3
	v_fmac_f32_e32 v42, 0xbf3504f3, v20
	v_fmac_f32_e32 v41, 0x3f3504f3, v20
	v_sub_f32_e32 v44, v8, v11
	v_fmac_f32_e32 v45, 0x3f3504f3, v27
	v_fma_f32 v20, v23, 2.0, -v46
	v_sub_f32_e32 v23, v31, v5
	v_fma_f32 v18, v18, 2.0, -v25
	v_sub_f32_e32 v29, v22, v29
	;; [unrolled: 2-line block ×3, first 2 shown]
	v_fma_f32 v3, v0, 2.0, -v39
	v_fmac_f32_e32 v42, 0xbf3504f3, v19
	v_add_f32_e32 v43, v7, v12
	v_fma_f32 v12, v8, 2.0, -v44
	v_fma_f32 v19, v24, 2.0, -v45
	v_sub_f32_e32 v24, v2, v6
	v_fma_f32 v0, v31, 2.0, -v23
	v_mov_b32_e32 v27, v17
	v_add_f32_e32 v31, v9, v14
	v_sub_f32_e32 v47, v10, v13
	v_mov_b32_e32 v49, v25
	v_fma_f32 v22, v22, 2.0, -v29
	v_fma_f32 v4, v1, 2.0, -v40
	v_fma_f32 v11, v7, 2.0, -v43
	v_fma_f32 v1, v2, 2.0, -v24
	v_fmac_f32_e32 v27, 0xbf3504f3, v21
	v_mov_b32_e32 v28, v18
	v_fma_f32 v13, v9, 2.0, -v31
	v_fma_f32 v10, v10, 2.0, -v47
	v_mov_b32_e32 v48, v26
	v_fmac_f32_e32 v49, 0x3f3504f3, v29
	v_mov_b32_e32 v9, v12
	v_fma_f32 v15, v15, 2.0, -v41
	v_fmac_f32_e32 v28, 0xbf3504f3, v22
	v_fmac_f32_e32 v27, 0x3f3504f3, v22
	;; [unrolled: 1-line block ×4, first 2 shown]
	v_sub_f32_e32 v0, v3, v0
	v_sub_f32_e32 v1, v4, v1
	v_mov_b32_e32 v8, v11
	v_fmac_f32_e32 v9, 0xbf3504f3, v10
	v_fma_f32 v16, v16, 2.0, -v42
	v_fmac_f32_e32 v28, 0xbf3504f3, v21
	v_fma_f32 v6, v17, 2.0, -v27
	v_fmac_f32_e32 v48, 0x3f3504f3, v29
	v_fma_f32 v17, v25, 2.0, -v49
	v_fma_f32 v2, v3, 2.0, -v0
	v_fma_f32 v3, v4, 2.0, -v1
	v_mov_b32_e32 v4, v15
	v_fmac_f32_e32 v8, 0xbf3504f3, v13
	v_fmac_f32_e32 v9, 0xbf3504f3, v13
	v_mov_b32_e32 v13, v20
	v_fma_f32 v7, v18, 2.0, -v28
	v_fma_f32 v14, v26, 2.0, -v48
	v_fmac_f32_e32 v4, 0xbf6c835e, v6
	v_mov_b32_e32 v5, v16
	v_fmac_f32_e32 v13, 0xbec3ef15, v17
	v_fmac_f32_e32 v5, 0xbf6c835e, v7
	;; [unrolled: 1-line block ×5, first 2 shown]
	v_fma_f32 v6, v15, 2.0, -v4
	v_fma_f32 v15, v20, 2.0, -v13
	v_mov_b32_e32 v20, v41
	v_fmac_f32_e32 v8, 0x3f3504f3, v10
	v_fmac_f32_e32 v20, 0x3ec3ef15, v27
	v_mov_b32_e32 v21, v42
	v_fma_f32 v7, v16, 2.0, -v5
	v_fma_f32 v10, v11, 2.0, -v8
	;; [unrolled: 1-line block ×3, first 2 shown]
	v_mov_b32_e32 v12, v19
	v_add_f32_e32 v16, v39, v24
	v_fmac_f32_e32 v21, 0x3ec3ef15, v28
	v_fmac_f32_e32 v20, 0x3f6c835e, v28
	v_mov_b32_e32 v24, v43
	v_mov_b32_e32 v25, v44
	;; [unrolled: 1-line block ×4, first 2 shown]
	v_fmac_f32_e32 v12, 0xbec3ef15, v14
	v_fmac_f32_e32 v24, 0x3f3504f3, v31
	;; [unrolled: 1-line block ×6, first 2 shown]
	v_sub_f32_e32 v17, v40, v23
	v_fmac_f32_e32 v21, 0xbf6c835e, v27
	v_fmac_f32_e32 v24, 0x3f3504f3, v47
	;; [unrolled: 1-line block ×5, first 2 shown]
	v_fma_f32 v14, v19, 2.0, -v12
	v_fma_f32 v18, v39, 2.0, -v16
	;; [unrolled: 1-line block ×9, first 2 shown]
	ds_write2_b64 v173, v[2:3], v[6:7] offset1:125
	ds_write2_b64 v32, v[10:11], v[14:15] offset0:122 offset1:247
	ds_write2_b64 v33, v[18:19], v[22:23] offset0:116 offset1:241
	;; [unrolled: 1-line block ×7, first 2 shown]
	s_waitcnt lgkmcnt(0)
	s_barrier
	ds_read2_b64 v[0:3], v173 offset1:125
	v_mad_u64_u32 v[8:9], s[2:3], s10, v140, 0
	s_mov_b32 s2, 0xd2f1a9fc
	s_mov_b32 s3, 0x3f40624d
	s_waitcnt lgkmcnt(0)
	v_mul_f32_e32 v4, v152, v1
	v_fmac_f32_e32 v4, v151, v0
	v_cvt_f64_f32_e32 v[4:5], v4
	v_mul_f32_e32 v0, v152, v0
	v_fma_f32 v0, v151, v1, -v0
	v_cvt_f64_f32_e32 v[0:1], v0
	v_mul_f64 v[4:5], v[4:5], s[2:3]
	v_mad_u64_u32 v[10:11], s[4:5], s8, v174, 0
	v_mov_b32_e32 v6, v9
	v_mad_u64_u32 v[6:7], s[4:5], s11, v140, v[6:7]
	v_mul_f64 v[0:1], v[0:1], s[2:3]
	s_movk_i32 s10, 0x2000
	v_cvt_f32_f64_e32 v12, v[4:5]
	v_mov_b32_e32 v4, v11
	v_mad_u64_u32 v[14:15], s[4:5], s9, v174, v[4:5]
	v_add_u32_e32 v4, 0x600, v173
	v_mov_b32_e32 v9, v6
	ds_read2_b64 v[4:7], v4 offset0:58 offset1:208
	v_cvt_f32_f64_e32 v13, v[0:1]
	v_lshlrev_b64 v[0:1], 3, v[8:9]
	v_mov_b32_e32 v11, v14
	v_mov_b32_e32 v14, s7
	s_waitcnt lgkmcnt(0)
	v_mul_f32_e32 v8, v150, v7
	v_fmac_f32_e32 v8, v149, v6
	v_mul_f32_e32 v6, v150, v6
	v_fma_f32 v6, v149, v7, -v6
	v_cvt_f64_f32_e32 v[8:9], v8
	v_cvt_f64_f32_e32 v[6:7], v6
	v_add_co_u32_e32 v15, vcc, s6, v0
	v_addc_co_u32_e32 v16, vcc, v14, v1, vcc
	v_mul_f64 v[0:1], v[8:9], s[2:3]
	v_mul_f64 v[6:7], v[6:7], s[2:3]
	v_lshlrev_b64 v[8:9], 3, v[10:11]
	s_mul_i32 s4, s9, 0x190
	v_add_co_u32_e32 v14, vcc, v15, v8
	v_addc_co_u32_e32 v15, vcc, v16, v9, vcc
	v_cvt_f32_f64_e32 v0, v[0:1]
	v_cvt_f32_f64_e32 v1, v[6:7]
	v_add_u32_e32 v6, 0x1800, v173
	ds_read2_b64 v[6:9], v6 offset0:32 offset1:157
	s_mul_hi_u32 s5, s8, 0x190
	s_add_i32 s5, s5, s4
	s_mul_i32 s4, s8, 0x190
	global_store_dwordx2 v[14:15], v[12:13], off
	s_waitcnt lgkmcnt(0)
	v_mul_f32_e32 v10, v148, v7
	v_fmac_f32_e32 v10, v147, v6
	v_mul_f32_e32 v6, v148, v6
	v_fma_f32 v6, v147, v7, -v6
	v_cvt_f64_f32_e32 v[16:17], v10
	v_cvt_f64_f32_e32 v[6:7], v6
	v_add_u32_e32 v10, 0x2000, v173
	s_lshl_b64 s[4:5], s[4:5], 3
	ds_read2_b64 v[10:13], v10 offset0:26 offset1:176
	v_mov_b32_e32 v22, s5
	v_add_co_u32_e32 v14, vcc, s4, v14
	v_addc_co_u32_e32 v15, vcc, v15, v22, vcc
	global_store_dwordx2 v[14:15], v[0:1], off
	v_mul_f64 v[0:1], v[16:17], s[2:3]
	v_mul_f64 v[6:7], v[6:7], s[2:3]
	s_waitcnt lgkmcnt(0)
	v_mul_f32_e32 v16, v146, v13
	v_fmac_f32_e32 v16, v145, v12
	v_cvt_f64_f32_e32 v[16:17], v16
	v_mul_f32_e32 v12, v146, v12
	v_fma_f32 v12, v145, v13, -v12
	v_cvt_f64_f32_e32 v[12:13], v12
	v_cvt_f32_f64_e32 v0, v[0:1]
	v_cvt_f32_f64_e32 v1, v[6:7]
	v_mul_f64 v[6:7], v[16:17], s[2:3]
	v_mul_f64 v[16:17], v[12:13], s[2:3]
	v_add_co_u32_e32 v18, vcc, s4, v14
	v_add_u32_e32 v12, 0x3000, v173
	v_addc_co_u32_e32 v19, vcc, v15, v22, vcc
	ds_read2_b64 v[12:15], v12 offset0:64 offset1:189
	global_store_dwordx2 v[18:19], v[0:1], off
	v_cvt_f32_f64_e32 v0, v[6:7]
	v_cvt_f32_f64_e32 v1, v[16:17]
	v_add_co_u32_e32 v16, vcc, s4, v18
	s_waitcnt lgkmcnt(0)
	v_mul_f32_e32 v6, v142, v13
	v_fmac_f32_e32 v6, v141, v12
	v_mul_f32_e32 v12, v142, v12
	v_fma_f32 v12, v141, v13, -v12
	v_cvt_f64_f32_e32 v[6:7], v6
	v_cvt_f64_f32_e32 v[12:13], v12
	v_addc_co_u32_e32 v17, vcc, v19, v22, vcc
	global_store_dwordx2 v[16:17], v[0:1], off
	v_mul_f64 v[0:1], v[6:7], s[2:3]
	v_mul_f64 v[6:7], v[12:13], s[2:3]
	v_mul_f32_e32 v12, v144, v3
	v_fmac_f32_e32 v12, v143, v2
	v_mul_f32_e32 v2, v144, v2
	v_fma_f32 v2, v143, v3, -v2
	v_cvt_f64_f32_e32 v[12:13], v12
	v_cvt_f64_f32_e32 v[2:3], v2
	v_cvt_f32_f64_e32 v0, v[0:1]
	v_cvt_f32_f64_e32 v1, v[6:7]
	v_mul_f64 v[12:13], v[12:13], s[2:3]
	v_mul_f64 v[2:3], v[2:3], s[2:3]
	v_add_co_u32_e32 v6, vcc, s4, v16
	v_addc_co_u32_e32 v7, vcc, v17, v22, vcc
	global_store_dwordx2 v[6:7], v[0:1], off
	v_add_u32_e32 v0, 0x1000, v173
	v_cvt_f32_f64_e32 v12, v[12:13]
	v_cvt_f32_f64_e32 v13, v[2:3]
	ds_read2_b64 v[0:3], v0 offset0:13 offset1:138
	s_mul_hi_u32 s7, s8, 0xfffffa3d
	s_mul_i32 s6, s9, 0xfffffa3d
	s_sub_i32 s7, s7, s8
	s_add_i32 s7, s7, s6
	s_waitcnt lgkmcnt(0)
	v_mul_f32_e32 v16, v139, v1
	v_fmac_f32_e32 v16, v138, v0
	v_mul_f32_e32 v0, v139, v0
	v_fma_f32 v0, v138, v1, -v0
	v_cvt_f64_f32_e32 v[16:17], v16
	v_cvt_f64_f32_e32 v[0:1], v0
	s_mul_i32 s6, s8, 0xfffffa3d
	s_lshl_b64 s[6:7], s[6:7], 3
	v_mul_f64 v[16:17], v[16:17], s[2:3]
	v_mul_f64 v[0:1], v[0:1], s[2:3]
	v_mov_b32_e32 v23, s7
	v_add_co_u32_e32 v18, vcc, s6, v6
	v_mul_f32_e32 v6, v137, v8
	v_addc_co_u32_e32 v19, vcc, v7, v23, vcc
	v_fma_f32 v6, v136, v9, -v6
	global_store_dwordx2 v[18:19], v[12:13], off
	v_cvt_f32_f64_e32 v12, v[16:17]
	v_cvt_f32_f64_e32 v13, v[0:1]
	v_mul_f32_e32 v0, v137, v9
	v_cvt_f64_f32_e32 v[16:17], v6
	v_add_u32_e32 v6, 0x2800, v173
	v_fmac_f32_e32 v0, v136, v8
	ds_read2_b64 v[6:9], v6 offset0:45 offset1:170
	v_cvt_f64_f32_e32 v[0:1], v0
	v_mul_f64 v[16:17], v[16:17], s[2:3]
	v_add_co_u32_e32 v18, vcc, s4, v18
	s_waitcnt lgkmcnt(0)
	v_mul_f32_e32 v20, v135, v7
	v_fmac_f32_e32 v20, v134, v6
	v_mul_f32_e32 v6, v135, v6
	v_fma_f32 v6, v134, v7, -v6
	v_mul_f64 v[0:1], v[0:1], s[2:3]
	v_cvt_f64_f32_e32 v[20:21], v20
	v_cvt_f64_f32_e32 v[6:7], v6
	v_addc_co_u32_e32 v19, vcc, v19, v22, vcc
	global_store_dwordx2 v[18:19], v[12:13], off
	v_mul_f64 v[12:13], v[20:21], s[2:3]
	v_mul_f64 v[6:7], v[6:7], s[2:3]
	v_cvt_f32_f64_e32 v0, v[0:1]
	v_cvt_f32_f64_e32 v1, v[16:17]
	v_add_co_u32_e32 v16, vcc, s4, v18
	v_addc_co_u32_e32 v17, vcc, v19, v22, vcc
	global_store_dwordx2 v[16:17], v[0:1], off
	v_cvt_f32_f64_e32 v0, v[12:13]
	v_cvt_f32_f64_e32 v1, v[6:7]
	v_mul_f32_e32 v6, v133, v15
	v_mul_f32_e32 v12, v133, v14
	v_fmac_f32_e32 v6, v132, v14
	v_fma_f32 v12, v132, v15, -v12
	v_cvt_f64_f32_e32 v[6:7], v6
	v_cvt_f64_f32_e32 v[12:13], v12
	v_add_co_u32_e32 v14, vcc, s4, v16
	v_mul_f32_e32 v16, v131, v5
	v_fmac_f32_e32 v16, v130, v4
	v_mul_f32_e32 v4, v131, v4
	v_fma_f32 v4, v130, v5, -v4
	v_mul_f64 v[6:7], v[6:7], s[2:3]
	v_mul_f64 v[12:13], v[12:13], s[2:3]
	v_cvt_f64_f32_e32 v[4:5], v4
	v_addc_co_u32_e32 v15, vcc, v17, v22, vcc
	v_cvt_f64_f32_e32 v[16:17], v16
	v_mul_f64 v[4:5], v[4:5], s[2:3]
	global_store_dwordx2 v[14:15], v[0:1], off
	v_cvt_f32_f64_e32 v0, v[6:7]
	v_cvt_f32_f64_e32 v1, v[12:13]
	v_add_co_u32_e32 v12, vcc, s4, v14
	v_addc_co_u32_e32 v13, vcc, v15, v22, vcc
	v_mul_f64 v[6:7], v[16:17], s[2:3]
	global_store_dwordx2 v[12:13], v[0:1], off
	v_cvt_f32_f64_e32 v1, v[4:5]
	v_mul_f32_e32 v4, v127, v3
	v_fmac_f32_e32 v4, v126, v2
	v_cvt_f64_f32_e32 v[4:5], v4
	v_mul_f32_e32 v2, v127, v2
	v_fma_f32 v2, v126, v3, -v2
	v_cvt_f64_f32_e32 v[2:3], v2
	v_mul_f64 v[4:5], v[4:5], s[2:3]
	v_cvt_f32_f64_e32 v0, v[6:7]
	v_add_co_u32_e32 v6, vcc, s6, v12
	v_mul_f32_e32 v12, v129, v11
	v_fmac_f32_e32 v12, v128, v10
	v_addc_co_u32_e32 v7, vcc, v13, v23, vcc
	v_mul_f64 v[2:3], v[2:3], s[2:3]
	v_cvt_f64_f32_e32 v[12:13], v12
	global_store_dwordx2 v[6:7], v[0:1], off
	v_cvt_f32_f64_e32 v0, v[4:5]
	v_mul_f32_e32 v10, v129, v10
	v_mul_f64 v[4:5], v[12:13], s[2:3]
	v_fma_f32 v10, v128, v11, -v10
	v_cvt_f64_f32_e32 v[10:11], v10
	v_cvt_f32_f64_e32 v1, v[2:3]
	v_add_co_u32_e32 v2, vcc, s4, v6
	v_mul_f64 v[10:11], v[10:11], s[2:3]
	v_addc_co_u32_e32 v3, vcc, v7, v22, vcc
	global_store_dwordx2 v[2:3], v[0:1], off
	v_cvt_f32_f64_e32 v0, v[4:5]
	v_mul_f32_e32 v4, v125, v9
	v_fmac_f32_e32 v4, v124, v8
	v_mul_f32_e32 v6, v125, v8
	v_cvt_f64_f32_e32 v[4:5], v4
	v_fma_f32 v6, v124, v9, -v6
	ds_read_b64 v[8:9], v173 offset:14800
	v_cvt_f32_f64_e32 v1, v[10:11]
	v_mul_f64 v[4:5], v[4:5], s[2:3]
	v_cvt_f64_f32_e32 v[6:7], v6
	v_add_co_u32_e32 v2, vcc, s4, v2
	s_waitcnt lgkmcnt(0)
	v_mul_f32_e32 v10, v123, v9
	v_fmac_f32_e32 v10, v122, v8
	v_mul_f32_e32 v8, v123, v8
	v_fma_f32 v8, v122, v9, -v8
	v_cvt_f64_f32_e32 v[10:11], v10
	v_cvt_f64_f32_e32 v[8:9], v8
	v_mul_f64 v[6:7], v[6:7], s[2:3]
	v_addc_co_u32_e32 v3, vcc, v3, v22, vcc
	global_store_dwordx2 v[2:3], v[0:1], off
	v_cvt_f32_f64_e32 v0, v[4:5]
	v_mul_f64 v[4:5], v[10:11], s[2:3]
	v_mul_f64 v[8:9], v[8:9], s[2:3]
	v_add_co_u32_e32 v2, vcc, s4, v2
	v_cvt_f32_f64_e32 v1, v[6:7]
	v_addc_co_u32_e32 v3, vcc, v3, v22, vcc
	s_movk_i32 s11, 0x3000
	v_cvt_f32_f64_e32 v4, v[4:5]
	v_cvt_f32_f64_e32 v5, v[8:9]
	global_store_dwordx2 v[2:3], v[0:1], off
	v_add_co_u32_e32 v0, vcc, s4, v2
	s_movk_i32 s8, 0x1000
	v_addc_co_u32_e32 v1, vcc, v3, v22, vcc
	global_store_dwordx2 v[0:1], v[4:5], off
	s_and_b64 exec, exec, s[0:1]
	s_cbranch_execz .LBB0_31
; %bb.30:
	global_load_dwordx2 v[2:3], v[120:121], off offset:3000
	ds_read_b64 v[4:5], v173 offset:3000
	ds_read_b64 v[6:7], v173 offset:6200
	;; [unrolled: 1-line block ×4, first 2 shown]
	v_mov_b32_e32 v14, s7
	s_waitcnt vmcnt(0) lgkmcnt(3)
	v_mul_f32_e32 v12, v5, v3
	v_mul_f32_e32 v3, v4, v3
	v_fmac_f32_e32 v12, v4, v2
	v_fma_f32 v4, v2, v5, -v3
	v_cvt_f64_f32_e32 v[2:3], v12
	v_cvt_f64_f32_e32 v[4:5], v4
	v_add_co_u32_e32 v12, vcc, s8, v120
	v_mul_f64 v[2:3], v[2:3], s[2:3]
	v_mul_f64 v[4:5], v[4:5], s[2:3]
	v_addc_co_u32_e32 v13, vcc, 0, v121, vcc
	v_add_co_u32_e32 v0, vcc, s6, v0
	v_addc_co_u32_e32 v1, vcc, v1, v14, vcc
	v_cvt_f32_f64_e32 v2, v[2:3]
	v_cvt_f32_f64_e32 v3, v[4:5]
	global_store_dwordx2 v[0:1], v[2:3], off
	global_load_dwordx2 v[2:3], v[12:13], off offset:2104
	v_mov_b32_e32 v12, s5
	s_waitcnt vmcnt(0) lgkmcnt(2)
	v_mul_f32_e32 v4, v7, v3
	v_mul_f32_e32 v3, v6, v3
	v_fmac_f32_e32 v4, v6, v2
	v_fma_f32 v5, v2, v7, -v3
	v_cvt_f64_f32_e32 v[2:3], v4
	v_cvt_f64_f32_e32 v[4:5], v5
	v_add_co_u32_e32 v6, vcc, s10, v120
	v_mul_f64 v[2:3], v[2:3], s[2:3]
	v_mul_f64 v[4:5], v[4:5], s[2:3]
	v_addc_co_u32_e32 v7, vcc, 0, v121, vcc
	v_add_co_u32_e32 v0, vcc, s4, v0
	v_addc_co_u32_e32 v1, vcc, v1, v12, vcc
	v_cvt_f32_f64_e32 v2, v[2:3]
	v_cvt_f32_f64_e32 v3, v[4:5]
	global_store_dwordx2 v[0:1], v[2:3], off
	global_load_dwordx2 v[2:3], v[6:7], off offset:1208
	v_add_co_u32_e32 v6, vcc, s11, v120
	v_addc_co_u32_e32 v7, vcc, 0, v121, vcc
	v_add_co_u32_e32 v0, vcc, s4, v0
	v_addc_co_u32_e32 v1, vcc, v1, v12, vcc
	s_waitcnt vmcnt(0) lgkmcnt(1)
	v_mul_f32_e32 v4, v9, v3
	v_mul_f32_e32 v3, v8, v3
	v_fmac_f32_e32 v4, v8, v2
	v_fma_f32 v5, v2, v9, -v3
	v_cvt_f64_f32_e32 v[2:3], v4
	v_cvt_f64_f32_e32 v[4:5], v5
	v_mul_f64 v[2:3], v[2:3], s[2:3]
	v_mul_f64 v[4:5], v[4:5], s[2:3]
	v_cvt_f32_f64_e32 v2, v[2:3]
	v_cvt_f32_f64_e32 v3, v[4:5]
	global_store_dwordx2 v[0:1], v[2:3], off
	global_load_dwordx2 v[2:3], v[6:7], off offset:312
	v_add_co_u32_e32 v0, vcc, s4, v0
	v_addc_co_u32_e32 v1, vcc, v1, v12, vcc
	s_waitcnt vmcnt(0) lgkmcnt(0)
	v_mul_f32_e32 v4, v11, v3
	v_mul_f32_e32 v3, v10, v3
	v_fmac_f32_e32 v4, v10, v2
	v_fma_f32 v5, v2, v11, -v3
	v_cvt_f64_f32_e32 v[2:3], v4
	v_cvt_f64_f32_e32 v[4:5], v5
	v_mul_f64 v[2:3], v[2:3], s[2:3]
	v_mul_f64 v[4:5], v[4:5], s[2:3]
	v_cvt_f32_f64_e32 v2, v[2:3]
	v_cvt_f32_f64_e32 v3, v[4:5]
	ds_read_b64 v[4:5], v173 offset:15800
	global_store_dwordx2 v[0:1], v[2:3], off
	global_load_dwordx2 v[2:3], v[6:7], off offset:3512
	v_add_co_u32_e32 v0, vcc, s4, v0
	v_addc_co_u32_e32 v1, vcc, v1, v12, vcc
	s_waitcnt vmcnt(0) lgkmcnt(0)
	v_mul_f32_e32 v6, v5, v3
	v_mul_f32_e32 v3, v4, v3
	v_fmac_f32_e32 v6, v4, v2
	v_fma_f32 v4, v2, v5, -v3
	v_cvt_f64_f32_e32 v[2:3], v6
	v_cvt_f64_f32_e32 v[4:5], v4
	v_mul_f64 v[2:3], v[2:3], s[2:3]
	v_mul_f64 v[4:5], v[4:5], s[2:3]
	v_cvt_f32_f64_e32 v2, v[2:3]
	v_cvt_f32_f64_e32 v3, v[4:5]
	global_store_dwordx2 v[0:1], v[2:3], off
.LBB0_31:
	s_endpgm
	.section	.rodata,"a",@progbits
	.p2align	6, 0x0
	.amdhsa_kernel bluestein_single_back_len2000_dim1_sp_op_CI_CI
		.amdhsa_group_segment_fixed_size 16000
		.amdhsa_private_segment_fixed_size 0
		.amdhsa_kernarg_size 104
		.amdhsa_user_sgpr_count 6
		.amdhsa_user_sgpr_private_segment_buffer 1
		.amdhsa_user_sgpr_dispatch_ptr 0
		.amdhsa_user_sgpr_queue_ptr 0
		.amdhsa_user_sgpr_kernarg_segment_ptr 1
		.amdhsa_user_sgpr_dispatch_id 0
		.amdhsa_user_sgpr_flat_scratch_init 0
		.amdhsa_user_sgpr_private_segment_size 0
		.amdhsa_uses_dynamic_stack 0
		.amdhsa_system_sgpr_private_segment_wavefront_offset 0
		.amdhsa_system_sgpr_workgroup_id_x 1
		.amdhsa_system_sgpr_workgroup_id_y 0
		.amdhsa_system_sgpr_workgroup_id_z 0
		.amdhsa_system_sgpr_workgroup_info 0
		.amdhsa_system_vgpr_workitem_id 0
		.amdhsa_next_free_vgpr 216
		.amdhsa_next_free_sgpr 20
		.amdhsa_reserve_vcc 1
		.amdhsa_reserve_flat_scratch 0
		.amdhsa_float_round_mode_32 0
		.amdhsa_float_round_mode_16_64 0
		.amdhsa_float_denorm_mode_32 3
		.amdhsa_float_denorm_mode_16_64 3
		.amdhsa_dx10_clamp 1
		.amdhsa_ieee_mode 1
		.amdhsa_fp16_overflow 0
		.amdhsa_exception_fp_ieee_invalid_op 0
		.amdhsa_exception_fp_denorm_src 0
		.amdhsa_exception_fp_ieee_div_zero 0
		.amdhsa_exception_fp_ieee_overflow 0
		.amdhsa_exception_fp_ieee_underflow 0
		.amdhsa_exception_fp_ieee_inexact 0
		.amdhsa_exception_int_div_zero 0
	.end_amdhsa_kernel
	.text
.Lfunc_end0:
	.size	bluestein_single_back_len2000_dim1_sp_op_CI_CI, .Lfunc_end0-bluestein_single_back_len2000_dim1_sp_op_CI_CI
                                        ; -- End function
	.section	.AMDGPU.csdata,"",@progbits
; Kernel info:
; codeLenInByte = 19624
; NumSgprs: 24
; NumVgprs: 216
; ScratchSize: 0
; MemoryBound: 0
; FloatMode: 240
; IeeeMode: 1
; LDSByteSize: 16000 bytes/workgroup (compile time only)
; SGPRBlocks: 2
; VGPRBlocks: 53
; NumSGPRsForWavesPerEU: 24
; NumVGPRsForWavesPerEU: 216
; Occupancy: 1
; WaveLimiterHint : 1
; COMPUTE_PGM_RSRC2:SCRATCH_EN: 0
; COMPUTE_PGM_RSRC2:USER_SGPR: 6
; COMPUTE_PGM_RSRC2:TRAP_HANDLER: 0
; COMPUTE_PGM_RSRC2:TGID_X_EN: 1
; COMPUTE_PGM_RSRC2:TGID_Y_EN: 0
; COMPUTE_PGM_RSRC2:TGID_Z_EN: 0
; COMPUTE_PGM_RSRC2:TIDIG_COMP_CNT: 0
	.type	__hip_cuid_15f2265c8f32e7b,@object ; @__hip_cuid_15f2265c8f32e7b
	.section	.bss,"aw",@nobits
	.globl	__hip_cuid_15f2265c8f32e7b
__hip_cuid_15f2265c8f32e7b:
	.byte	0                               ; 0x0
	.size	__hip_cuid_15f2265c8f32e7b, 1

	.ident	"AMD clang version 19.0.0git (https://github.com/RadeonOpenCompute/llvm-project roc-6.4.0 25133 c7fe45cf4b819c5991fe208aaa96edf142730f1d)"
	.section	".note.GNU-stack","",@progbits
	.addrsig
	.addrsig_sym __hip_cuid_15f2265c8f32e7b
	.amdgpu_metadata
---
amdhsa.kernels:
  - .args:
      - .actual_access:  read_only
        .address_space:  global
        .offset:         0
        .size:           8
        .value_kind:     global_buffer
      - .actual_access:  read_only
        .address_space:  global
        .offset:         8
        .size:           8
        .value_kind:     global_buffer
      - .actual_access:  read_only
        .address_space:  global
        .offset:         16
        .size:           8
        .value_kind:     global_buffer
      - .actual_access:  read_only
        .address_space:  global
        .offset:         24
        .size:           8
        .value_kind:     global_buffer
      - .actual_access:  read_only
        .address_space:  global
        .offset:         32
        .size:           8
        .value_kind:     global_buffer
      - .offset:         40
        .size:           8
        .value_kind:     by_value
      - .address_space:  global
        .offset:         48
        .size:           8
        .value_kind:     global_buffer
      - .address_space:  global
        .offset:         56
        .size:           8
        .value_kind:     global_buffer
      - .address_space:  global
        .offset:         64
        .size:           8
        .value_kind:     global_buffer
      - .address_space:  global
        .offset:         72
        .size:           8
        .value_kind:     global_buffer
      - .offset:         80
        .size:           4
        .value_kind:     by_value
      - .address_space:  global
        .offset:         88
        .size:           8
        .value_kind:     global_buffer
      - .address_space:  global
        .offset:         96
        .size:           8
        .value_kind:     global_buffer
    .group_segment_fixed_size: 16000
    .kernarg_segment_align: 8
    .kernarg_segment_size: 104
    .language:       OpenCL C
    .language_version:
      - 2
      - 0
    .max_flat_workgroup_size: 125
    .name:           bluestein_single_back_len2000_dim1_sp_op_CI_CI
    .private_segment_fixed_size: 0
    .sgpr_count:     24
    .sgpr_spill_count: 0
    .symbol:         bluestein_single_back_len2000_dim1_sp_op_CI_CI.kd
    .uniform_work_group_size: 1
    .uses_dynamic_stack: false
    .vgpr_count:     216
    .vgpr_spill_count: 0
    .wavefront_size: 64
amdhsa.target:   amdgcn-amd-amdhsa--gfx906
amdhsa.version:
  - 1
  - 2
...

	.end_amdgpu_metadata
